;; amdgpu-corpus repo=ROCm/rccl kind=compiled arch=gfx1100 opt=O3
	.text
	.amdgcn_target "amdgcn-amd-amdhsa--gfx1100"
	.amdhsa_code_object_version 6
	.p2align	2                               ; -- Begin function _ZN12_GLOBAL__N_17runRingIa7FuncSumIaE7ProtoLLLi0ELi1ELi0EEEviiP15ncclDevWorkColl
	.type	_ZN12_GLOBAL__N_17runRingIa7FuncSumIaE7ProtoLLLi0ELi1ELi0EEEviiP15ncclDevWorkColl,@function
_ZN12_GLOBAL__N_17runRingIa7FuncSumIaE7ProtoLLLi0ELi1ELi0EEEviiP15ncclDevWorkColl: ; @_ZN12_GLOBAL__N_17runRingIa7FuncSumIaE7ProtoLLLi0ELi1ELi0EEEviiP15ncclDevWorkColl
; %bb.0:
	s_waitcnt vmcnt(0) expcnt(0) lgkmcnt(0)
	s_cbranch_execnz .LBB0_15
; %bb.1:
	ds_load_b64 v[4:5], v0
	s_clause 0x1
	flat_load_b64 v[20:21], v[2:3]
	flat_load_u16 v9, v[2:3] offset:8
	ds_load_b32 v6, v0
	s_mov_b32 s0, exec_lo
                                        ; implicit-def: $vgpr16_vgpr17
                                        ; implicit-def: $vgpr18_vgpr19
	s_waitcnt lgkmcnt(3)
	flat_load_b64 v[14:15], v[4:5]
                                        ; implicit-def: $vgpr4_vgpr5
	s_waitcnt vmcnt(2) lgkmcnt(3)
	v_dual_mov_b32 v8, v21 :: v_dual_and_b32 v7, 0xff, v20
	s_waitcnt lgkmcnt(1)
	s_delay_alu instid0(VALU_DEP_1)
	v_cmpx_ne_u32_e64 v7, v6
	s_xor_b32 s0, exec_lo, s0
	s_cbranch_execz .LBB0_7
; %bb.2:
	v_bfe_u32 v11, v20, 8, 8
	v_not_b32_e32 v10, v7
	s_mov_b32 s1, exec_lo
                                        ; implicit-def: $vgpr16_vgpr17
                                        ; implicit-def: $vgpr4_vgpr5
                                        ; implicit-def: $vgpr18_vgpr19
	s_delay_alu instid0(VALU_DEP_2)
	v_cmpx_ne_u32_e64 v11, v6
	s_xor_b32 s1, exec_lo, s1
	s_cbranch_execz .LBB0_4
; %bb.3:
	s_clause 0x1
	flat_load_b128 v[21:24], v[2:3] offset:72
	flat_load_b64 v[4:5], v[2:3] offset:96
	v_add_nc_u32_e32 v6, v6, v10
                                        ; implicit-def: $vgpr11
                                        ; implicit-def: $vgpr10
	s_waitcnt vmcnt(0) lgkmcnt(0)
	v_lshrrev_b64 v[16:17], 21, v[4:5]
	v_dual_mov_b32 v4, v23 :: v_dual_mov_b32 v5, v24
	s_delay_alu instid0(VALU_DEP_3) | instskip(SKIP_2) | instid1(VALU_DEP_3)
	v_ashrrev_i32_e32 v7, 31, v6
	v_mad_u64_u32 v[18:19], null, v23, v6, v[21:22]
	v_mul_lo_u32 v6, v24, v6
	v_mul_lo_u32 v7, v23, v7
	s_delay_alu instid0(VALU_DEP_1)
	v_add3_u32 v19, v6, v19, v7
.LBB0_4:
	s_and_not1_saveexec_b32 s1, s1
	s_cbranch_execz .LBB0_6
; %bb.5:
	s_clause 0x1
	flat_load_b128 v[21:24], v[2:3] offset:72
	flat_load_b128 v[4:7], v[2:3] offset:88
	s_waitcnt vmcnt(0) lgkmcnt(0)
	v_add_nc_u32_e32 v6, v11, v10
	s_delay_alu instid0(VALU_DEP_1) | instskip(NEXT) | instid1(VALU_DEP_1)
	v_ashrrev_i32_e32 v10, 31, v6
	v_mul_lo_u32 v10, v23, v10
	v_mad_u64_u32 v[18:19], null, v23, v6, v[21:22]
	v_mul_lo_u32 v6, v24, v6
	v_lshrrev_b32_e32 v16, 10, v7
	s_delay_alu instid0(VALU_DEP_2)
	v_add3_u32 v19, v6, v19, v10
.LBB0_6:
	s_or_b32 exec_lo, exec_lo, s1
.LBB0_7:
	s_and_not1_saveexec_b32 s0, s0
; %bb.8:
	s_clause 0x1
	flat_load_b64 v[4:5], v[2:3] offset:72
	flat_load_b64 v[16:17], v[2:3] offset:96
	v_mov_b32_e32 v18, 0
	v_mov_b32_e32 v19, 0
; %bb.9:
	s_or_b32 exec_lo, exec_lo, s0
	flat_load_b128 v[10:13], v[2:3] offset:16
	v_and_b32_e32 v2, 0x44000000, v20
	s_waitcnt vmcnt(1) lgkmcnt(1)
	v_bfe_u32 v17, v8, 1, 30
	s_mov_b32 s0, exec_lo
	s_delay_alu instid0(VALU_DEP_2) | instskip(NEXT) | instid1(VALU_DEP_1)
	v_cmp_eq_u32_e64 s10, 0x44000000, v2
	v_cndmask_b32_e64 v2, v1, 32, s10
	s_delay_alu instid0(VALU_DEP_1)
	v_cmpx_ge_i32_e64 v0, v2
	s_xor_b32 s1, exec_lo, s0
	s_cbranch_execz .LBB0_43
; %bb.10:
	s_waitcnt vmcnt(0) lgkmcnt(0)
	v_cmp_ne_u64_e32 vcc_lo, v[12:13], v[10:11]
	v_cmp_eq_u32_e64 s0, v14, v17
	s_delay_alu instid0(VALU_DEP_1) | instskip(NEXT) | instid1(SALU_CYCLE_1)
	s_and_b32 s0, vcc_lo, s0
	s_and_saveexec_b32 s2, s0
	s_cbranch_execz .LBB0_42
; %bb.11:
	v_sub_nc_u32_e32 v8, v0, v2
	s_mov_b32 s0, exec_lo
	s_delay_alu instid0(VALU_DEP_1) | instskip(NEXT) | instid1(VALU_DEP_1)
	v_ashrrev_i32_e32 v0, 31, v8
	v_lshrrev_b32_e32 v0, 27, v0
	s_delay_alu instid0(VALU_DEP_1) | instskip(NEXT) | instid1(VALU_DEP_1)
	v_add_nc_u32_e32 v0, v8, v0
	v_and_b32_e32 v3, 0xffffffe0, v0
	s_delay_alu instid0(VALU_DEP_1) | instskip(SKIP_1) | instid1(VALU_DEP_2)
	v_sub_nc_u32_e32 v17, v8, v3
	v_mov_b32_e32 v3, 0
	v_cmpx_gt_i32_e32 1, v17
; %bb.12:
	v_add_nc_u32_e32 v3, v12, v18
	v_add_nc_u32_e32 v6, v10, v18
	s_delay_alu instid0(VALU_DEP_1) | instskip(NEXT) | instid1(VALU_DEP_1)
	v_or_b32_e32 v3, v3, v6
	v_and_b32_e32 v3, 15, v3
	s_delay_alu instid0(VALU_DEP_1)
	v_cmp_ne_u32_e32 vcc_lo, 0, v3
	v_cndmask_b32_e64 v3, 0, 1, vcc_lo
; %bb.13:
	s_or_b32 exec_lo, exec_lo, s0
	;;#ASMSTART
	;;#ASMEND
	s_delay_alu instid0(VALU_DEP_1)
	v_cmp_ne_u32_e32 vcc_lo, 0, v3
	v_ashrrev_i32_e32 v9, 5, v0
	v_sub_nc_u32_e32 v16, v1, v2
	s_cbranch_vccz .LBB0_17
; %bb.14:
	v_mov_b32_e32 v0, 0
	v_mov_b32_e32 v1, 0
	s_mov_b32 s0, -1
	s_delay_alu instid0(SALU_CYCLE_1)
	s_and_b32 exec_lo, exec_lo, s0
	s_cbranch_execnz .LBB0_34
	s_branch .LBB0_42
.LBB0_15:
	s_trap 2
	s_sendmsg_rtn_b32 s0, sendmsg(MSG_RTN_GET_DOORBELL)
	s_mov_b32 ttmp2, m0
	s_waitcnt lgkmcnt(0)
	s_and_b32 s0, s0, 0x3ff
	s_delay_alu instid0(SALU_CYCLE_1) | instskip(NEXT) | instid1(SALU_CYCLE_1)
	s_bitset1_b32 s0, 10
	s_mov_b32 m0, s0
	s_sendmsg sendmsg(MSG_INTERRUPT)
	s_mov_b32 m0, ttmp2
.LBB0_16:                               ; =>This Inner Loop Header: Depth=1
	s_sethalt 5
	s_branch .LBB0_16
.LBB0_17:
	v_ashrrev_i32_e32 v0, 31, v5
	s_delay_alu instid0(VALU_DEP_3) | instskip(SKIP_1) | instid1(VALU_DEP_2)
	v_ashrrev_i32_e32 v2, 31, v9
	s_mov_b32 s3, exec_lo
	v_lshrrev_b32_e32 v0, 22, v0
	s_delay_alu instid0(VALU_DEP_1) | instskip(SKIP_1) | instid1(VALU_DEP_1)
	v_add_co_u32 v0, vcc_lo, v4, v0
	v_add_co_ci_u32_e32 v1, vcc_lo, 0, v5, vcc_lo
	v_ashrrev_i64 v[0:1], 10, v[0:1]
	s_delay_alu instid0(VALU_DEP_1) | instskip(NEXT) | instid1(VALU_DEP_2)
	v_sub_co_u32 v7, vcc_lo, v0, v9
	v_sub_co_ci_u32_e32 v8, vcc_lo, v1, v2, vcc_lo
	s_delay_alu instid0(VALU_DEP_1)
	v_cmpx_lt_i64_e32 0, v[7:8]
	s_cbranch_execz .LBB0_21
; %bb.18:
	v_ashrrev_i32_e32 v2, 31, v16
	v_lshlrev_b32_e32 v3, 4, v17
	s_mov_b32 s4, 0
	s_delay_alu instid0(VALU_DEP_2) | instskip(NEXT) | instid1(VALU_DEP_2)
	v_lshrrev_b32_e32 v2, 27, v2
	v_lshl_add_u32 v14, v9, 10, v3
	s_delay_alu instid0(VALU_DEP_2) | instskip(NEXT) | instid1(VALU_DEP_2)
	v_add_nc_u32_e32 v2, v16, v2
	v_ashrrev_i32_e32 v15, 31, v14
	s_delay_alu instid0(VALU_DEP_2) | instskip(NEXT) | instid1(VALU_DEP_1)
	v_ashrrev_i32_e32 v2, 5, v2
	v_lshl_add_u32 v6, v2, 10, 0xfffffc00
	v_ashrrev_i32_e32 v3, 31, v2
	s_delay_alu instid0(VALU_DEP_2) | instskip(SKIP_1) | instid1(VALU_DEP_2)
	v_ashrrev_i32_e32 v9, 31, v6
	v_add_co_u32 v6, vcc_lo, 0x400, v6
	v_add_co_ci_u32_e32 v9, vcc_lo, 0, v9, vcc_lo
	v_add_co_u32 v14, vcc_lo, v18, v14
	v_add_co_ci_u32_e32 v15, vcc_lo, v19, v15, vcc_lo
	.p2align	6
.LBB0_19:                               ; =>This Inner Loop Header: Depth=1
	s_delay_alu instid0(VALU_DEP_2) | instskip(NEXT) | instid1(VALU_DEP_2)
	v_add_co_u32 v24, vcc_lo, v12, v14
	v_add_co_ci_u32_e32 v25, vcc_lo, v13, v15, vcc_lo
	v_sub_co_u32 v7, vcc_lo, v7, v2
	v_sub_co_ci_u32_e32 v8, vcc_lo, v8, v3, vcc_lo
	s_clause 0x1
	global_load_b128 v[20:23], v[24:25], off slc dlc
	global_load_b128 v[24:27], v[24:25], off offset:512 slc dlc
	v_add_co_u32 v28, vcc_lo, v10, v14
	v_add_co_ci_u32_e32 v29, vcc_lo, v11, v15, vcc_lo
	v_cmp_gt_i64_e32 vcc_lo, 1, v[7:8]
	v_add_co_u32 v14, s0, v14, v6
	s_delay_alu instid0(VALU_DEP_1)
	v_add_co_ci_u32_e64 v15, s0, v15, v9, s0
	s_waitcnt vmcnt(1)
	global_store_b128 v[28:29], v[20:23], off glc slc dlc
	s_waitcnt vmcnt(0)
	global_store_b128 v[28:29], v[24:27], off offset:512 glc slc dlc
	s_or_b32 s4, vcc_lo, s4
	s_delay_alu instid0(SALU_CYCLE_1)
	s_and_not1_b32 exec_lo, exec_lo, s4
	s_cbranch_execnz .LBB0_19
; %bb.20:
	s_or_b32 exec_lo, exec_lo, s4
.LBB0_21:
	s_delay_alu instid0(SALU_CYCLE_1)
	s_or_b32 exec_lo, exec_lo, s3
	v_lshlrev_b64 v[14:15], 10, v[0:1]
	v_mov_b32_e32 v0, 0
	v_mov_b32_e32 v1, 0
	s_mov_b32 s0, 0
	s_mov_b32 s3, exec_lo
                                        ; implicit-def: $vgpr8
                                        ; implicit-def: $vgpr9
	s_delay_alu instid0(VALU_DEP_3)
	v_cmpx_ne_u64_e64 v[4:5], v[14:15]
	s_cbranch_execz .LBB0_33
; %bb.22:
	v_sub_co_u32 v20, vcc_lo, v4, v14
	v_sub_co_ci_u32_e32 v21, vcc_lo, v5, v15, vcc_lo
	v_mov_b32_e32 v1, 0
	s_delay_alu instid0(VALU_DEP_2) | instskip(NEXT) | instid1(VALU_DEP_1)
	v_ashrrev_i32_e32 v0, 31, v21
	v_lshrrev_b32_e32 v0, 23, v0
	s_delay_alu instid0(VALU_DEP_1) | instskip(SKIP_1) | instid1(VALU_DEP_2)
	v_add_co_u32 v5, vcc_lo, v20, v0
	v_add_co_ci_u32_e32 v6, vcc_lo, 0, v21, vcc_lo
	v_and_b32_e32 v0, 0xfffffe00, v5
	s_delay_alu instid0(VALU_DEP_2) | instskip(NEXT) | instid1(VALU_DEP_2)
	v_ashrrev_i64 v[8:9], 9, v[5:6]
	v_sub_co_u32 v2, vcc_lo, v20, v0
	v_add_co_u32 v5, s0, v0, v14
	v_sub_co_ci_u32_e32 v3, vcc_lo, v21, v6, vcc_lo
	v_add_co_ci_u32_e64 v6, s0, v6, v15, s0
	s_mov_b32 s0, exec_lo
	s_delay_alu instid0(VALU_DEP_2)
	v_cmpx_lt_i64_e32 15, v[2:3]
; %bb.23:
	v_and_b32_e32 v0, 15, v4
	s_delay_alu instid0(VALU_DEP_1) | instskip(SKIP_3) | instid1(VALU_DEP_4)
	v_sub_co_u32 v2, vcc_lo, v2, v0
	v_subrev_co_ci_u32_e32 v3, vcc_lo, 0, v3, vcc_lo
	v_add_co_u32 v8, vcc_lo, v8, 1
	v_add_co_ci_u32_e32 v9, vcc_lo, 0, v9, vcc_lo
	v_add_co_u32 v5, vcc_lo, v2, v5
	s_delay_alu instid0(VALU_DEP_4)
	v_add_co_ci_u32_e32 v6, vcc_lo, v3, v6, vcc_lo
	v_dual_mov_b32 v3, v1 :: v_dual_mov_b32 v2, v0
; %bb.24:
	s_or_b32 exec_lo, exec_lo, s0
	v_lshlrev_b32_e32 v0, 5, v7
	s_mov_b32 s4, exec_lo
	s_delay_alu instid0(VALU_DEP_1) | instskip(NEXT) | instid1(VALU_DEP_1)
	v_sub_nc_u32_e32 v0, v17, v0
	v_ashrrev_i32_e32 v1, 31, v0
	s_delay_alu instid0(VALU_DEP_1) | instskip(NEXT) | instid1(VALU_DEP_1)
	v_lshrrev_b32_e32 v1, 27, v1
	v_add_nc_u32_e32 v1, v0, v1
	s_delay_alu instid0(VALU_DEP_1) | instskip(SKIP_1) | instid1(VALU_DEP_2)
	v_and_b32_e32 v4, 0xffffffe0, v1
	v_ashrrev_i32_e32 v7, 5, v1
	v_sub_nc_u32_e32 v4, v0, v4
	s_delay_alu instid0(VALU_DEP_2) | instskip(NEXT) | instid1(VALU_DEP_2)
	v_ashrrev_i32_e32 v17, 31, v7
	v_lshlrev_b32_e32 v0, 4, v4
	s_delay_alu instid0(VALU_DEP_1) | instskip(SKIP_1) | instid1(VALU_DEP_1)
	v_lshl_add_u32 v22, v7, 9, v0
	v_sub_co_u32 v7, s0, v8, v7
	v_sub_co_ci_u32_e64 v8, s0, v9, v17, s0
	s_delay_alu instid0(VALU_DEP_3) | instskip(SKIP_1) | instid1(VALU_DEP_2)
	v_ashrrev_i32_e32 v23, 31, v22
	v_sub_co_u32 v0, vcc_lo, v20, v22
	v_sub_co_ci_u32_e32 v1, vcc_lo, v21, v23, vcc_lo
	s_delay_alu instid0(VALU_DEP_1)
	v_cmpx_lt_i64_e32 15, v[0:1]
	s_cbranch_execz .LBB0_28
; %bb.25:
	v_ashrrev_i32_e32 v9, 31, v16
	v_add_co_u32 v24, vcc_lo, v18, v14
	v_add_co_ci_u32_e32 v25, vcc_lo, v19, v15, vcc_lo
	s_delay_alu instid0(VALU_DEP_3) | instskip(SKIP_1) | instid1(VALU_DEP_1)
	v_lshrrev_b32_e32 v9, 27, v9
	s_mov_b32 s5, 0
	v_add_nc_u32_e32 v9, v16, v9
	s_delay_alu instid0(VALU_DEP_1) | instskip(NEXT) | instid1(VALU_DEP_1)
	v_ashrrev_i32_e32 v9, 5, v9
	v_lshlrev_b32_e32 v17, 9, v9
	v_ashrrev_i32_e32 v14, 31, v9
	s_delay_alu instid0(VALU_DEP_2) | instskip(SKIP_1) | instid1(VALU_DEP_2)
	v_add_nc_u32_e32 v20, 0xfffffe00, v17
	v_ashrrev_i32_e32 v15, 31, v17
	v_ashrrev_i32_e32 v21, 31, v20
	v_add_co_u32 v20, vcc_lo, 0x200, v20
	s_delay_alu instid0(VALU_DEP_2)
	v_add_co_ci_u32_e32 v21, vcc_lo, 0, v21, vcc_lo
	v_add_co_u32 v22, vcc_lo, v24, v22
	v_add_co_ci_u32_e32 v23, vcc_lo, v25, v23, vcc_lo
	.p2align	6
.LBB0_26:                               ; =>This Inner Loop Header: Depth=1
	s_delay_alu instid0(VALU_DEP_2) | instskip(NEXT) | instid1(VALU_DEP_2)
	v_add_co_u32 v24, vcc_lo, v12, v22
	v_add_co_ci_u32_e32 v25, vcc_lo, v13, v23, vcc_lo
	v_add_co_u32 v28, vcc_lo, v10, v22
	v_add_co_ci_u32_e32 v29, vcc_lo, v11, v23, vcc_lo
	global_load_b128 v[24:27], v[24:25], off slc dlc
	v_sub_co_u32 v0, vcc_lo, v0, v17
	v_sub_co_ci_u32_e32 v1, vcc_lo, v1, v15, vcc_lo
	v_sub_co_u32 v7, vcc_lo, v7, v9
	v_sub_co_ci_u32_e32 v8, vcc_lo, v8, v14, vcc_lo
	s_delay_alu instid0(VALU_DEP_3) | instskip(SKIP_1) | instid1(VALU_DEP_1)
	v_cmp_gt_i64_e32 vcc_lo, 16, v[0:1]
	v_add_co_u32 v22, s0, v22, v20
	v_add_co_ci_u32_e64 v23, s0, v23, v21, s0
	s_or_b32 s5, vcc_lo, s5
	s_waitcnt vmcnt(0)
	global_store_b128 v[28:29], v[24:27], off glc slc dlc
	s_and_not1_b32 exec_lo, exec_lo, s5
	s_cbranch_execnz .LBB0_26
; %bb.27:
	s_or_b32 exec_lo, exec_lo, s5
.LBB0_28:
	s_delay_alu instid0(SALU_CYCLE_1) | instskip(NEXT) | instid1(SALU_CYCLE_1)
	s_or_b32 exec_lo, exec_lo, s4
	s_mov_b32 s0, exec_lo
	v_cmpx_lt_i64_e32 0, v[7:8]
; %bb.29:
	v_ashrrev_i32_e32 v0, 31, v16
	s_delay_alu instid0(VALU_DEP_1) | instskip(NEXT) | instid1(VALU_DEP_1)
	v_lshrrev_b32_e32 v0, 27, v0
	v_add_nc_u32_e32 v0, v16, v0
	s_delay_alu instid0(VALU_DEP_1) | instskip(NEXT) | instid1(VALU_DEP_1)
	v_ashrrev_i32_e32 v0, 5, v0
	v_sub_co_u32 v7, vcc_lo, v7, v0
; %bb.30:
	s_or_b32 exec_lo, exec_lo, s0
	v_mov_b32_e32 v0, 0
	v_mov_b32_e32 v1, 0
	s_mov_b32 s0, 0
	s_mov_b32 s4, exec_lo
                                        ; implicit-def: $vgpr8
                                        ; implicit-def: $vgpr9
	v_cmpx_ne_u64_e32 0, v[2:3]
; %bb.31:
	v_lshlrev_b32_e32 v0, 5, v7
	s_mov_b32 s0, exec_lo
	s_delay_alu instid0(VALU_DEP_1) | instskip(NEXT) | instid1(VALU_DEP_1)
	v_sub_nc_u32_e32 v8, v4, v0
	v_ashrrev_i32_e32 v0, 31, v8
	s_delay_alu instid0(VALU_DEP_1) | instskip(NEXT) | instid1(VALU_DEP_1)
	v_lshrrev_b32_e32 v0, 27, v0
	v_add_nc_u32_e32 v0, v8, v0
	s_delay_alu instid0(VALU_DEP_1)
	v_ashrrev_i32_e32 v9, 5, v0
	v_dual_mov_b32 v0, v5 :: v_dual_mov_b32 v1, v6
; %bb.32:
	s_or_b32 exec_lo, exec_lo, s4
	v_dual_mov_b32 v5, v3 :: v_dual_mov_b32 v4, v2
	s_and_b32 s0, s0, exec_lo
.LBB0_33:
	s_or_b32 exec_lo, exec_lo, s3
	s_delay_alu instid0(SALU_CYCLE_1)
	s_and_b32 exec_lo, exec_lo, s0
	s_cbranch_execz .LBB0_42
.LBB0_34:
	v_ashrrev_i32_e32 v2, 31, v5
	s_mov_b32 s0, exec_lo
	s_delay_alu instid0(VALU_DEP_1) | instskip(NEXT) | instid1(VALU_DEP_1)
	v_lshrrev_b32_e32 v2, 24, v2
	v_add_co_u32 v2, vcc_lo, v4, v2
	v_add_co_ci_u32_e32 v3, vcc_lo, 0, v5, vcc_lo
	s_delay_alu instid0(VALU_DEP_1) | instskip(SKIP_1) | instid1(VALU_DEP_2)
	v_ashrrev_i64 v[6:7], 8, v[2:3]
	v_ashrrev_i32_e32 v3, 31, v9
	v_sub_co_u32 v2, vcc_lo, v6, v9
	s_delay_alu instid0(VALU_DEP_2) | instskip(NEXT) | instid1(VALU_DEP_1)
	v_sub_co_ci_u32_e32 v3, vcc_lo, v7, v3, vcc_lo
	v_cmpx_lt_i64_e32 0, v[2:3]
	s_cbranch_execz .LBB0_38
; %bb.35:
	v_ashrrev_i32_e32 v14, 31, v8
	v_ashrrev_i32_e32 v15, 31, v16
	v_add_co_u32 v25, vcc_lo, v18, v0
	v_add_co_ci_u32_e32 v26, vcc_lo, v19, v1, vcc_lo
	s_delay_alu instid0(VALU_DEP_4) | instskip(NEXT) | instid1(VALU_DEP_4)
	v_lshrrev_b32_e32 v14, 27, v14
	v_lshrrev_b32_e32 v15, 27, v15
	s_mov_b32 s3, 0
	s_delay_alu instid0(VALU_DEP_2) | instskip(NEXT) | instid1(VALU_DEP_2)
	v_add_nc_u32_e32 v14, v8, v14
	v_add_nc_u32_e32 v15, v16, v15
	s_delay_alu instid0(VALU_DEP_2) | instskip(NEXT) | instid1(VALU_DEP_2)
	v_and_b32_e32 v17, 0xffffffe0, v14
	v_ashrrev_i32_e32 v14, 5, v15
	s_delay_alu instid0(VALU_DEP_2) | instskip(NEXT) | instid1(VALU_DEP_2)
	v_sub_nc_u32_e32 v15, v8, v17
	v_lshl_add_u32 v23, v14, 8, 0xffffff00
	v_add_co_u32 v17, vcc_lo, v25, v12
	v_add_co_ci_u32_e32 v20, vcc_lo, v26, v13, vcc_lo
	s_delay_alu instid0(VALU_DEP_3) | instskip(SKIP_3) | instid1(VALU_DEP_4)
	v_ashrrev_i32_e32 v24, 31, v23
	v_lshl_add_u32 v15, v9, 8, v15
	v_add_co_u32 v23, vcc_lo, 0x100, v23
	v_ashrrev_i32_e32 v21, 31, v14
	v_add_co_ci_u32_e32 v24, vcc_lo, 0, v24, vcc_lo
	v_add_co_u32 v25, vcc_lo, v25, v10
	v_ashrrev_i32_e32 v22, 31, v15
	v_add_co_ci_u32_e32 v26, vcc_lo, v26, v11, vcc_lo
.LBB0_36:                               ; =>This Inner Loop Header: Depth=1
	v_add_co_u32 v27, vcc_lo, v15, v17
	s_delay_alu instid0(VALU_DEP_3)
	v_add_co_ci_u32_e32 v28, vcc_lo, v22, v20, vcc_lo
	s_clause 0x7
	flat_load_u8 v29, v[27:28] slc dlc
	flat_load_u8 v30, v[27:28] offset:32 slc dlc
	flat_load_u8 v31, v[27:28] offset:64 slc dlc
	;; [unrolled: 1-line block ×7, first 2 shown]
	v_add_co_u32 v27, vcc_lo, v15, v25
	v_add_co_ci_u32_e32 v28, vcc_lo, v22, v26, vcc_lo
	v_sub_co_u32 v2, vcc_lo, v2, v14
	v_sub_co_ci_u32_e32 v3, vcc_lo, v3, v21, vcc_lo
	v_add_co_u32 v17, vcc_lo, v17, v23
	v_add_co_ci_u32_e32 v20, vcc_lo, v20, v24, vcc_lo
	v_add_co_u32 v25, vcc_lo, v25, v23
	v_add_co_ci_u32_e32 v26, vcc_lo, v26, v24, vcc_lo
	v_cmp_gt_i64_e32 vcc_lo, 1, v[2:3]
	s_waitcnt vmcnt(7) lgkmcnt(7)
	flat_store_b8 v[27:28], v29 glc slc dlc
	s_waitcnt vmcnt(6) lgkmcnt(7)
	flat_store_b8 v[27:28], v30 offset:32 glc slc dlc
	s_waitcnt vmcnt(5) lgkmcnt(7)
	flat_store_b8 v[27:28], v31 offset:64 glc slc dlc
	s_waitcnt vmcnt(4) lgkmcnt(7)
	flat_store_b8 v[27:28], v32 offset:96 glc slc dlc
	s_waitcnt vmcnt(3) lgkmcnt(7)
	flat_store_b8 v[27:28], v33 offset:128 glc slc dlc
	s_waitcnt vmcnt(2) lgkmcnt(7)
	flat_store_b8 v[27:28], v34 offset:160 glc slc dlc
	s_waitcnt vmcnt(1) lgkmcnt(7)
	flat_store_b8 v[27:28], v35 offset:192 glc slc dlc
	s_waitcnt vmcnt(0) lgkmcnt(7)
	flat_store_b8 v[27:28], v36 offset:224 glc slc dlc
	s_or_b32 s3, vcc_lo, s3
	s_delay_alu instid0(SALU_CYCLE_1)
	s_and_not1_b32 exec_lo, exec_lo, s3
	s_cbranch_execnz .LBB0_36
; %bb.37:
	s_or_b32 exec_lo, exec_lo, s3
.LBB0_38:
	s_delay_alu instid0(SALU_CYCLE_1) | instskip(SKIP_1) | instid1(VALU_DEP_1)
	s_or_b32 exec_lo, exec_lo, s0
	v_lshlrev_b64 v[6:7], 8, v[6:7]
	v_cmp_ne_u64_e32 vcc_lo, v[4:5], v[6:7]
	s_and_b32 exec_lo, exec_lo, vcc_lo
	s_cbranch_execz .LBB0_42
; %bb.39:
	v_lshlrev_b32_e32 v3, 5, v9
	v_lshlrev_b32_e32 v2, 5, v2
	s_delay_alu instid0(VALU_DEP_2) | instskip(NEXT) | instid1(VALU_DEP_1)
	v_sub_nc_u32_e32 v3, v8, v3
	v_sub_nc_u32_e32 v8, v3, v2
	s_delay_alu instid0(VALU_DEP_1) | instskip(SKIP_1) | instid1(VALU_DEP_2)
	v_ashrrev_i32_e32 v9, 31, v8
	v_add_co_u32 v2, vcc_lo, v6, v8
	v_add_co_ci_u32_e32 v3, vcc_lo, v7, v9, vcc_lo
	s_delay_alu instid0(VALU_DEP_2) | instskip(NEXT) | instid1(VALU_DEP_2)
	v_sub_co_u32 v2, vcc_lo, v4, v2
	v_sub_co_ci_u32_e32 v3, vcc_lo, v5, v3, vcc_lo
	s_delay_alu instid0(VALU_DEP_1)
	v_cmp_lt_i64_e32 vcc_lo, 0, v[2:3]
	s_and_b32 exec_lo, exec_lo, vcc_lo
	s_cbranch_execz .LBB0_42
; %bb.40:
	v_ashrrev_i32_e32 v4, 31, v16
	v_add_co_u32 v0, vcc_lo, v18, v0
	v_add_co_ci_u32_e32 v1, vcc_lo, v19, v1, vcc_lo
	s_delay_alu instid0(VALU_DEP_3) | instskip(NEXT) | instid1(VALU_DEP_3)
	v_lshrrev_b32_e32 v4, 27, v4
	v_add_co_u32 v6, vcc_lo, v0, v6
	s_delay_alu instid0(VALU_DEP_3) | instskip(NEXT) | instid1(VALU_DEP_3)
	v_add_co_ci_u32_e32 v7, vcc_lo, v1, v7, vcc_lo
	v_add_nc_u32_e32 v4, v16, v4
	s_mov_b32 s3, 0
	s_delay_alu instid0(VALU_DEP_1) | instskip(NEXT) | instid1(VALU_DEP_1)
	v_and_b32_e32 v4, 0xffffffe0, v4
	v_subrev_nc_u32_e32 v5, 32, v4
	v_ashrrev_i32_e32 v0, 31, v4
	s_delay_alu instid0(VALU_DEP_2) | instskip(SKIP_1) | instid1(VALU_DEP_2)
	v_ashrrev_i32_e32 v14, 31, v5
	v_add_co_u32 v1, vcc_lo, v5, 32
	v_add_co_ci_u32_e32 v5, vcc_lo, 0, v14, vcc_lo
	v_add_co_u32 v6, vcc_lo, v6, v8
	v_add_co_ci_u32_e32 v7, vcc_lo, v7, v9, vcc_lo
	.p2align	6
.LBB0_41:                               ; =>This Inner Loop Header: Depth=1
	s_delay_alu instid0(VALU_DEP_2) | instskip(NEXT) | instid1(VALU_DEP_2)
	v_add_co_u32 v8, vcc_lo, v12, v6
	v_add_co_ci_u32_e32 v9, vcc_lo, v13, v7, vcc_lo
	v_sub_co_u32 v2, vcc_lo, v2, v4
	v_sub_co_ci_u32_e32 v3, vcc_lo, v3, v0, vcc_lo
	flat_load_u8 v14, v[8:9] slc dlc
	v_add_co_u32 v8, vcc_lo, v10, v6
	v_add_co_ci_u32_e32 v9, vcc_lo, v11, v7, vcc_lo
	v_cmp_gt_i64_e32 vcc_lo, 1, v[2:3]
	v_add_co_u32 v6, s0, v6, v1
	s_delay_alu instid0(VALU_DEP_1)
	v_add_co_ci_u32_e64 v7, s0, v7, v5, s0
	s_or_b32 s3, vcc_lo, s3
	s_waitcnt vmcnt(0) lgkmcnt(0)
	flat_store_b8 v[8:9], v14 glc slc dlc
	s_and_not1_b32 exec_lo, exec_lo, s3
	s_cbranch_execnz .LBB0_41
.LBB0_42:
	s_or_b32 exec_lo, exec_lo, s2
                                        ; implicit-def: $vgpr16_vgpr17
                                        ; implicit-def: $vgpr14_vgpr15
                                        ; implicit-def: $vgpr18_vgpr19
                                        ; implicit-def: $vgpr4_vgpr5
                                        ; implicit-def: $vgpr2
                                        ; implicit-def: $vgpr0
                                        ; implicit-def: $vgpr31
                                        ; implicit-def: $vgpr12_vgpr13
                                        ; implicit-def: $vgpr8_vgpr9
                                        ; implicit-def: $vgpr17
.LBB0_43:
	s_and_not1_saveexec_b32 s11, s1
	s_cbranch_execz .LBB0_462
; %bb.44:
	s_load_b32 s0, s[8:9], 0x0
	v_mov_b32_e32 v1, 0
	s_mov_b32 s2, 0
	s_waitcnt lgkmcnt(0)
	s_cmp_lt_u32 s12, s0
	s_cselect_b32 s0, 12, 18
	s_delay_alu instid0(SALU_CYCLE_1)
	s_add_u32 s0, s8, s0
	s_addc_u32 s1, s9, 0
	global_load_u16 v3, v1, s[0:1]
	s_cbranch_execnz .LBB0_50
; %bb.45:
	ds_load_b32 v6, v0
	v_ashrrev_i32_e32 v1, 31, v0
	s_delay_alu instid0(VALU_DEP_1) | instskip(NEXT) | instid1(VALU_DEP_1)
	v_lshrrev_b32_e32 v7, 27, v1
	v_add_nc_u32_e32 v20, v0, v7
	v_lshrrev_b64 v[7:8], 31, v[8:9]
	s_delay_alu instid0(VALU_DEP_2) | instskip(NEXT) | instid1(VALU_DEP_2)
	v_and_b32_e32 v8, 0xffffffe0, v20
	v_and_b32_e32 v9, 3, v7
	s_waitcnt lgkmcnt(0)
	v_cmp_gt_i32_e32 vcc_lo, 0, v6
	s_delay_alu instid0(VALU_DEP_3)
	v_sub_nc_u32_e32 v8, v0, v8
	v_readfirstlane_b32 s1, v6
	s_cbranch_vccnz .LBB0_52
; %bb.46:
	s_delay_alu instid0(VALU_DEP_2)
	v_cmp_eq_u32_e32 vcc_lo, 0, v8
	s_cbranch_execnz .LBB0_56
; %bb.47:
	ds_load_b64 v[20:21], v0
	v_dual_mov_b32 v7, 0 :: v_dual_and_b32 v22, 0xffff, v9
	s_mov_b32 s2, 1
	s_delay_alu instid0(VALU_DEP_1) | instskip(SKIP_1) | instid1(VALU_DEP_1)
	v_lshlrev_b64 v[6:7], 3, v[6:7]
	s_waitcnt lgkmcnt(0)
	v_add_co_u32 v6, s0, v20, v6
	s_delay_alu instid0(VALU_DEP_1)
	v_add_co_ci_u32_e64 v7, s0, v21, v7, s0
	flat_load_b64 v[6:7], v[6:7]
	s_waitcnt vmcnt(0) lgkmcnt(0)
	v_mad_u64_u32 v[20:21], null, 0xa8, v22, v[6:7]
	s_clause 0x1
	flat_load_b64 v[22:23], v[20:21] offset:504
	flat_load_b64 v[24:25], v[20:21] offset:608
	v_add_co_u32 v6, s0, 0x1f8, v20
	s_delay_alu instid0(VALU_DEP_1) | instskip(NEXT) | instid1(VALU_DEP_1)
	v_add_co_ci_u32_e64 v7, s0, 0, v21, s0
	v_dual_cndmask_b32 v20, 0, v6 :: v_dual_cndmask_b32 v21, 0, v7
	s_cbranch_execz .LBB0_53
.LBB0_48:
	s_trap 2
	s_sendmsg_rtn_b32 s0, sendmsg(MSG_RTN_GET_DOORBELL)
	s_mov_b32 ttmp2, m0
	s_waitcnt lgkmcnt(0)
	s_and_b32 s0, s0, 0x3ff
	s_delay_alu instid0(SALU_CYCLE_1) | instskip(NEXT) | instid1(SALU_CYCLE_1)
	s_bitset1_b32 s0, 10
	s_mov_b32 m0, s0
	s_sendmsg sendmsg(MSG_INTERRUPT)
	s_mov_b32 m0, ttmp2
.LBB0_49:                               ; =>This Inner Loop Header: Depth=1
	s_sethalt 5
	s_branch .LBB0_49
.LBB0_50:
	s_trap 2
	s_sendmsg_rtn_b32 s0, sendmsg(MSG_RTN_GET_DOORBELL)
	s_mov_b32 ttmp2, m0
	s_waitcnt lgkmcnt(0)
	s_and_b32 s0, s0, 0x3ff
	s_delay_alu instid0(SALU_CYCLE_1) | instskip(NEXT) | instid1(SALU_CYCLE_1)
	s_bitset1_b32 s0, 10
	s_mov_b32 m0, s0
	s_sendmsg sendmsg(MSG_INTERRUPT)
	s_mov_b32 m0, ttmp2
.LBB0_51:                               ; =>This Inner Loop Header: Depth=1
	s_sethalt 5
	s_branch .LBB0_51
.LBB0_52:
	v_mov_b32_e32 v20, 0
	v_mov_b32_e32 v21, 0
                                        ; implicit-def: $vgpr24_vgpr25
                                        ; implicit-def: $vgpr22_vgpr23
	s_cbranch_execnz .LBB0_48
.LBB0_53:
	ds_load_b32 v6, v0
	v_mov_b32_e32 v28, 0
	v_mov_b32_e32 v29, 0
	s_waitcnt lgkmcnt(0)
	v_cmp_gt_i32_e32 vcc_lo, 0, v6
	s_cbranch_vccnz .LBB0_58
; %bb.54:
	s_cbranch_execnz .LBB0_65
; %bb.55:
	ds_load_b64 v[26:27], v0
	v_mov_b32_e32 v7, 0
	v_and_b32_e32 v9, 0xffff, v9
	s_delay_alu instid0(VALU_DEP_2) | instskip(SKIP_1) | instid1(VALU_DEP_1)
	v_lshlrev_b64 v[6:7], 3, v[6:7]
	s_waitcnt lgkmcnt(0)
	v_add_co_u32 v6, vcc_lo, v26, v6
	s_delay_alu instid0(VALU_DEP_2)
	v_add_co_ci_u32_e32 v7, vcc_lo, v27, v7, vcc_lo
	v_cmp_eq_u32_e32 vcc_lo, 0, v8
	flat_load_b64 v[6:7], v[6:7]
	s_waitcnt vmcnt(0) lgkmcnt(0)
	v_mad_u64_u32 v[26:27], null, 0xa8, v9, v[6:7]
	s_clause 0x1
	flat_load_b64 v[32:33], v[26:27]
	flat_load_b64 v[34:35], v[26:27] offset:104
	v_dual_cndmask_b32 v26, 0, v26 :: v_dual_cndmask_b32 v27, 0, v27
	s_branch .LBB0_59
.LBB0_56:
	s_trap 2
	s_sendmsg_rtn_b32 s0, sendmsg(MSG_RTN_GET_DOORBELL)
	s_mov_b32 ttmp2, m0
	s_waitcnt lgkmcnt(0)
	s_and_b32 s0, s0, 0x3ff
	s_delay_alu instid0(SALU_CYCLE_1) | instskip(NEXT) | instid1(SALU_CYCLE_1)
	s_bitset1_b32 s0, 10
	s_mov_b32 m0, s0
	s_sendmsg sendmsg(MSG_INTERRUPT)
	s_mov_b32 m0, ttmp2
.LBB0_57:                               ; =>This Inner Loop Header: Depth=1
	s_sethalt 5
	s_branch .LBB0_57
.LBB0_58:
	s_delay_alu instid0(VALU_DEP_2)
	v_dual_mov_b32 v26, v28 :: v_dual_mov_b32 v27, v29
                                        ; implicit-def: $vgpr34_vgpr35
                                        ; implicit-def: $vgpr32_vgpr33
.LBB0_59:
	v_subrev_nc_u32_e32 v6, 32, v2
	v_cmp_gt_i32_e64 s0, s2, v8
                                        ; implicit-def: $vgpr36_vgpr37
	s_delay_alu instid0(VALU_DEP_2) | instskip(NEXT) | instid1(VALU_DEP_2)
	v_cmp_le_i32_e32 vcc_lo, v6, v0
	s_and_b32 s12, vcc_lo, s0
	s_delay_alu instid0(SALU_CYCLE_1)
	s_and_saveexec_b32 s0, s12
; %bb.60:
	s_clause 0x1
	flat_load_b64 v[28:29], v[20:21] offset:56
	flat_load_b64 v[36:37], v[20:21] offset:104
; %bb.61:
	s_or_b32 exec_lo, exec_lo, s0
	v_mov_b32_e32 v50, 0
	v_mov_b32_e32 v51, 0
	v_cmp_gt_i32_e64 s0, s2, v0
	s_delay_alu instid0(VALU_DEP_3) | instskip(SKIP_1) | instid1(VALU_DEP_4)
	v_mov_b32_e32 v6, v50
	v_mov_b32_e32 v38, v50
                                        ; implicit-def: $vgpr48_vgpr49
	v_mov_b32_e32 v39, v51
	v_mov_b32_e32 v7, v51
	s_and_saveexec_b32 s2, s0
	s_cbranch_execz .LBB0_63
; %bb.62:
	flat_load_b64 v[38:39], v[26:27] offset:56
	s_waitcnt vmcnt(0) lgkmcnt(0)
	flat_load_b64 v[48:49], v[38:39] glc dlc
	s_waitcnt vmcnt(0)
	flat_load_b128 v[6:9], v[26:27] offset:96
.LBB0_63:
	s_or_b32 exec_lo, exec_lo, s2
	s_waitcnt vmcnt(0)
	v_and_b32_e32 v30, 0xffff, v3
	s_mov_b32 s13, exec_lo
	v_cmpx_ne_u64_e32 0, v[4:5]
	s_cbranch_execz .LBB0_372
; %bb.64:
	v_cvt_f64_u32_e32 v[50:51], 0
	v_dual_mov_b32 v80, 0 :: v_dual_lshlrev_b32 v3, 4, v16
	v_dual_mov_b32 v119, 0 :: v_dual_lshlrev_b32 v100, 3, v0
	s_ashr_i32 s2, s1, 31
	s_delay_alu instid0(VALU_DEP_2) | instskip(SKIP_1) | instid1(VALU_DEP_3)
	v_and_b32_e32 v98, 0x1fffff0, v3
	v_ashrrev_i32_e32 v3, 31, v2
	v_ashrrev_i32_e32 v103, 31, v100
	v_add_co_u32 v112, vcc_lo, v10, v100
	s_delay_alu instid0(VALU_DEP_4) | instskip(SKIP_1) | instid1(VALU_DEP_3)
	v_cvt_f64_u32_e32 v[52:53], v98
	s_lshr_b32 s2, s2, 29
	v_add_co_ci_u32_e32 v113, vcc_lo, v11, v103, vcc_lo
	v_add_co_u32 v64, vcc_lo, v18, v12
	v_cmp_ne_u64_e64 s9, v[12:13], v[10:11]
	v_and_b32_e32 v12, 0x1fffff, v16
	s_add_i32 s1, s1, s2
	v_add_co_ci_u32_e32 v65, vcc_lo, v19, v13, vcc_lo
	s_ashr_i32 s14, s1, 7
	v_cmp_ne_u32_e64 s1, v14, v17
	v_add_co_u32 v66, vcc_lo, v64, v100
	v_lshlrev_b32_e32 v115, 7, v12
	v_lshlrev_b64 v[12:13], 4, v[0:1]
	v_add_co_ci_u32_e32 v67, vcc_lo, v65, v103, vcc_lo
	v_cmp_ne_u32_e64 s2, v15, v17
	v_dual_mov_b32 v118, 1 :: v_dual_and_b32 v15, 31, v31
	v_add_co_u32 v70, vcc_lo, v10, v18
	v_add_co_ci_u32_e32 v71, vcc_lo, v11, v19, vcc_lo
	s_waitcnt lgkmcnt(1)
	v_add_co_u32 v1, vcc_lo, v32, v12
	v_ldexp_f64 v[50:51], v[50:51], 32
	v_cmp_ne_u64_e64 s3, 0, v[38:39]
	s_waitcnt lgkmcnt(0)
	v_cmp_ne_u64_e64 s4, 0, v[6:7]
	v_cmp_ne_u64_e64 s8, 0, v[28:29]
	v_lshlrev_b64 v[68:69], 4, v[2:3]
	v_cmp_ne_u32_e64 s5, 32, v2
	v_cmp_ne_u32_e64 s6, v2, v30
	v_cmp_eq_u32_e64 s7, 0, v15
	v_lshlrev_b32_e32 v116, 6, v2
	v_add_co_ci_u32_e32 v117, vcc_lo, v33, v13, vcc_lo
	s_xor_b32 s10, s10, -1
	s_mov_b32 s15, 0
	s_and_b32 s16, s10, s9
	v_dual_mov_b32 v81, 0 :: v_dual_lshlrev_b32 v102, 3, v2
	v_add_f64 v[50:51], v[50:51], v[52:53]
	v_lshrrev_b32_e32 v52, 27, v3
	v_lshlrev_b32_e32 v3, 3, v66
	s_delay_alu instid0(VALU_DEP_2) | instskip(NEXT) | instid1(VALU_DEP_1)
	v_dual_mov_b32 v53, 0 :: v_dual_add_nc_u32 v14, v2, v52
	v_ashrrev_i32_e32 v99, 5, v14
	s_delay_alu instid0(VALU_DEP_1)
	v_ashrrev_i32_e32 v101, 31, v99
	v_max_f64 v[54:55], v[50:51], v[50:51]
	v_dual_mov_b32 v50, v80 :: v_dual_mov_b32 v51, v81
	v_ashrrev_i32_e32 v114, 31, v102
	s_branch .LBB0_70
.LBB0_65:
	s_trap 2
	s_sendmsg_rtn_b32 s0, sendmsg(MSG_RTN_GET_DOORBELL)
	s_mov_b32 ttmp2, m0
	s_waitcnt lgkmcnt(0)
	s_and_b32 s0, s0, 0x3ff
	s_delay_alu instid0(SALU_CYCLE_1) | instskip(NEXT) | instid1(SALU_CYCLE_1)
	s_bitset1_b32 s0, 10
	s_mov_b32 m0, s0
	s_sendmsg sendmsg(MSG_INTERRUPT)
	s_mov_b32 m0, ttmp2
.LBB0_66:                               ; =>This Inner Loop Header: Depth=1
	s_sethalt 5
	s_branch .LBB0_66
.LBB0_67:                               ;   in Loop: Header=BB0_70 Depth=1
	s_or_b32 exec_lo, exec_lo, s18
	v_add_co_u32 v34, vcc_lo, v34, 1
	v_add_co_ci_u32_e32 v35, vcc_lo, 0, v35, vcc_lo
.LBB0_68:                               ;   in Loop: Header=BB0_70 Depth=1
	s_or_b32 exec_lo, exec_lo, s10
.LBB0_69:                               ;   in Loop: Header=BB0_70 Depth=1
	s_delay_alu instid0(SALU_CYCLE_1)
	s_or_b32 exec_lo, exec_lo, s17
	v_add_co_u32 v80, vcc_lo, v80, v98
	v_add_co_ci_u32_e32 v81, vcc_lo, 0, v81, vcc_lo
	v_add_co_u32 v64, vcc_lo, v64, v98
	v_add_co_ci_u32_e32 v65, vcc_lo, 0, v65, vcc_lo
	;; [unrolled: 2-line block ×3, first 2 shown]
	v_cmp_ge_u64_e32 vcc_lo, v[80:81], v[4:5]
	v_add_co_u32 v66, s9, v66, v98
	v_add_nc_u32_e32 v3, v3, v115
	v_add_co_ci_u32_e64 v67, s9, 0, v67, s9
	s_or_b32 s15, vcc_lo, s15
	s_delay_alu instid0(SALU_CYCLE_1)
	s_and_not1_b32 exec_lo, exec_lo, s15
	s_cbranch_execz .LBB0_371
.LBB0_70:                               ; =>This Loop Header: Depth=1
                                        ;     Child Loop BB0_79 Depth 2
                                        ;     Child Loop BB0_99 Depth 2
	;; [unrolled: 1-line block ×3, first 2 shown]
                                        ;       Child Loop BB0_119 Depth 3
                                        ;     Child Loop BB0_161 Depth 2
                                        ;     Child Loop BB0_178 Depth 2
	;; [unrolled: 1-line block ×3, first 2 shown]
                                        ;       Child Loop BB0_188 Depth 3
                                        ;     Child Loop BB0_226 Depth 2
                                        ;     Child Loop BB0_252 Depth 2
	;; [unrolled: 1-line block ×9, first 2 shown]
	v_sub_co_u32 v12, vcc_lo, v4, v80
	v_sub_co_ci_u32_e32 v10, vcc_lo, v5, v81, vcc_lo
	s_delay_alu instid0(VALU_DEP_2) | instskip(NEXT) | instid1(VALU_DEP_2)
	v_cvt_f64_u32_e32 v[12:13], v12
	v_cvt_f64_u32_e32 v[10:11], v10
	s_delay_alu instid0(VALU_DEP_1) | instskip(NEXT) | instid1(VALU_DEP_1)
	v_ldexp_f64 v[10:11], v[10:11], 32
	v_add_f64 v[10:11], v[10:11], v[12:13]
	s_delay_alu instid0(VALU_DEP_1) | instskip(NEXT) | instid1(VALU_DEP_1)
	v_min_f64 v[10:11], v[54:55], v[10:11]
	v_cvt_i32_f64_e32 v10, v[10:11]
	s_delay_alu instid0(VALU_DEP_1) | instskip(SKIP_1) | instid1(SALU_CYCLE_1)
	v_max_i32_e32 v12, 0, v10
	s_and_saveexec_b32 s9, s1
	s_xor_b32 s17, exec_lo, s9
	s_cbranch_execz .LBB0_243
; %bb.71:                               ;   in Loop: Header=BB0_70 Depth=1
	v_add_co_u32 v13, vcc_lo, v80, v18
	v_add_co_ci_u32_e32 v15, vcc_lo, v81, v19, vcc_lo
	s_and_saveexec_b32 s9, s2
	s_delay_alu instid0(SALU_CYCLE_1)
	s_xor_b32 s18, exec_lo, s9
	s_cbranch_execz .LBB0_180
; %bb.72:                               ;   in Loop: Header=BB0_70 Depth=1
	s_and_saveexec_b32 s9, s3
	s_cbranch_execz .LBB0_90
; %bb.73:                               ;   in Loop: Header=BB0_70 Depth=1
	v_add_co_u32 v10, vcc_lo, v8, 1
	v_add_co_ci_u32_e32 v11, vcc_lo, 0, v9, vcc_lo
	s_waitcnt vmcnt(0) lgkmcnt(0)
	v_add_co_u32 v16, vcc_lo, v48, 8
	v_add_co_ci_u32_e32 v17, vcc_lo, 0, v49, vcc_lo
	s_mov_b32 s10, exec_lo
	s_delay_alu instid0(VALU_DEP_1)
	v_cmpx_lt_u64_e64 v[16:17], v[10:11]
	s_cbranch_execz .LBB0_87
; %bb.74:                               ;   in Loop: Header=BB0_70 Depth=1
	s_sleep 1
	flat_load_b64 v[48:49], v[38:39] glc
	v_cmp_eq_u32_e32 vcc_lo, 0, v119
	s_and_saveexec_b32 s19, vcc_lo
	s_cbranch_execz .LBB0_86
; %bb.75:                               ;   in Loop: Header=BB0_70 Depth=1
	v_cndmask_b32_e64 v9, 0, 1, vcc_lo
	s_mov_b32 s20, 0
                                        ; implicit-def: $sgpr21
	s_branch .LBB0_79
.LBB0_76:                               ;   in Loop: Header=BB0_79 Depth=2
	s_or_b32 exec_lo, exec_lo, s24
	s_delay_alu instid0(SALU_CYCLE_1)
	s_or_not1_b32 s24, s25, exec_lo
.LBB0_77:                               ;   in Loop: Header=BB0_79 Depth=2
	s_or_b32 exec_lo, exec_lo, s23
	s_xor_b32 s23, s24, -1
	s_and_not1_b32 s21, s21, exec_lo
	s_and_b32 s23, s23, exec_lo
	s_delay_alu instid0(SALU_CYCLE_1)
	s_or_b32 s21, s21, s23
.LBB0_78:                               ;   in Loop: Header=BB0_79 Depth=2
	s_or_b32 exec_lo, exec_lo, s22
	s_delay_alu instid0(SALU_CYCLE_1) | instskip(NEXT) | instid1(SALU_CYCLE_1)
	s_and_b32 s22, exec_lo, s21
	s_or_b32 s20, s22, s20
	s_delay_alu instid0(SALU_CYCLE_1)
	s_and_not1_b32 exec_lo, exec_lo, s20
	s_cbranch_execz .LBB0_85
.LBB0_79:                               ;   Parent Loop BB0_70 Depth=1
                                        ; =>  This Inner Loop Header: Depth=2
	s_waitcnt vmcnt(0) lgkmcnt(0)
	v_add_co_u32 v16, vcc_lo, v48, 8
	v_add_co_ci_u32_e32 v17, vcc_lo, 0, v49, vcc_lo
	v_mov_b32_e32 v119, 0
	s_or_b32 s21, s21, exec_lo
	s_mov_b32 s22, exec_lo
	s_delay_alu instid0(VALU_DEP_2)
	v_cmpx_lt_u64_e64 v[16:17], v[10:11]
	s_cbranch_execz .LBB0_78
; %bb.80:                               ;   in Loop: Header=BB0_79 Depth=2
	s_sleep 1
	flat_load_b64 v[48:49], v[38:39] glc
	v_add_nc_u32_e32 v9, 1, v9
	v_mov_b32_e32 v119, 0
	s_mov_b32 s24, -1
	s_mov_b32 s23, exec_lo
	s_delay_alu instid0(VALU_DEP_2)
	v_cmpx_eq_u32_e32 0x2710, v9
	s_cbranch_execz .LBB0_77
; %bb.81:                               ;   in Loop: Header=BB0_79 Depth=2
	s_cbranch_execnz .LBB0_384
; %bb.82:                               ;   in Loop: Header=BB0_79 Depth=2
	ds_load_b64 v[16:17], v0
	v_mov_b32_e32 v9, 0
	v_mov_b32_e32 v119, 0
	s_mov_b32 s25, -1
	s_mov_b32 s24, exec_lo
	s_waitcnt vmcnt(0) lgkmcnt(0)
	s_waitcnt_vscnt null, 0x0
	flat_load_b32 v14, v[16:17] glc
	s_waitcnt vmcnt(0) lgkmcnt(0)
	buffer_gl1_inv
	buffer_gl0_inv
	v_cmpx_ne_u32_e32 0, v14
	s_cbranch_execz .LBB0_76
; %bb.83:                               ;   in Loop: Header=BB0_79 Depth=2
	ds_store_b32 v0, v14
	s_cbranch_execnz .LBB0_413
; %bb.84:                               ;   in Loop: Header=BB0_79 Depth=2
	v_mov_b32_e32 v119, 1
	s_xor_b32 s25, exec_lo, -1
	s_branch .LBB0_76
.LBB0_85:                               ;   in Loop: Header=BB0_70 Depth=1
	s_or_b32 exec_lo, exec_lo, s20
.LBB0_86:                               ;   in Loop: Header=BB0_70 Depth=1
	s_delay_alu instid0(SALU_CYCLE_1)
	s_or_b32 exec_lo, exec_lo, s19
.LBB0_87:                               ;   in Loop: Header=BB0_70 Depth=1
	s_delay_alu instid0(SALU_CYCLE_1)
	s_or_b32 exec_lo, exec_lo, s10
	s_and_saveexec_b32 s10, s4
	s_cbranch_execz .LBB0_89
; %bb.88:                               ;   in Loop: Header=BB0_70 Depth=1
	v_add_nc_u32_e32 v9, 7, v12
	v_and_b32_e32 v52, 0x7ffffff8, v8
	s_delay_alu instid0(VALU_DEP_2) | instskip(NEXT) | instid1(VALU_DEP_2)
	v_ashrrev_i32_e32 v14, 31, v9
	v_cmp_eq_u64_e32 vcc_lo, 0x7ffffff8, v[52:53]
	s_delay_alu instid0(VALU_DEP_2) | instskip(NEXT) | instid1(VALU_DEP_1)
	v_lshrrev_b32_e32 v14, 29, v14
	v_add_nc_u32_e32 v9, v9, v14
	v_and_b32_e32 v14, 7, v8
	s_delay_alu instid0(VALU_DEP_2) | instskip(NEXT) | instid1(VALU_DEP_2)
	v_lshrrev_b32_e32 v9, 3, v9
	v_mad_u64_u32 v[16:17], null, v14, 24, v[6:7]
	s_delay_alu instid0(VALU_DEP_2) | instskip(NEXT) | instid1(VALU_DEP_1)
	v_cndmask_b32_e64 v9, v9, s14, vcc_lo
	v_lshlrev_b32_e32 v8, 4, v9
	s_delay_alu instid0(VALU_DEP_1)
	v_ashrrev_i32_e32 v9, 31, v8
	flat_store_b64 v[16:17], v[8:9] offset:8 dlc
	s_waitcnt_vscnt null, 0x0
.LBB0_89:                               ;   in Loop: Header=BB0_70 Depth=1
	s_or_b32 exec_lo, exec_lo, s10
	v_dual_mov_b32 v8, v10 :: v_dual_mov_b32 v9, v11
.LBB0_90:                               ;   in Loop: Header=BB0_70 Depth=1
	s_or_b32 exec_lo, exec_lo, s9
	s_and_saveexec_b32 s9, s5
	s_cbranch_execz .LBB0_112
; %bb.91:                               ;   in Loop: Header=BB0_70 Depth=1
	s_and_saveexec_b32 s10, s6
	s_delay_alu instid0(SALU_CYCLE_1)
	s_xor_b32 s10, exec_lo, s10
	s_cbranch_execz .LBB0_109
; %bb.92:                               ;   in Loop: Header=BB0_70 Depth=1
	s_and_saveexec_b32 s19, s7
	s_cbranch_execz .LBB0_108
; %bb.93:                               ;   in Loop: Header=BB0_70 Depth=1
	s_mov_b32 s21, exec_lo
	s_mov_b32 s20, exec_lo
	v_mbcnt_lo_u32_b32 v10, s21, 0
	s_waitcnt vmcnt(0) lgkmcnt(0)
	s_waitcnt_vscnt null, 0x0
	buffer_gl1_inv
	buffer_gl0_inv
	v_cmpx_eq_u32_e32 0, v10
	s_cbranch_execz .LBB0_95
; %bb.94:                               ;   in Loop: Header=BB0_70 Depth=1
	s_bcnt1_i32_b32 s21, s21
	s_delay_alu instid0(SALU_CYCLE_1)
	v_mov_b32_e32 v52, s21
	ds_add_u64 v0, v[52:53]
	s_cbranch_execnz .LBB0_411
.LBB0_95:                               ;   in Loop: Header=BB0_70 Depth=1
	s_or_b32 exec_lo, exec_lo, s20
	s_cbranch_execnz .LBB0_405
; %bb.96:                               ;   in Loop: Header=BB0_70 Depth=1
	ds_load_b64 v[10:11], v0
	v_add_co_u32 v50, vcc_lo, v50, v99
	v_add_co_ci_u32_e32 v51, vcc_lo, v51, v101, vcc_lo
	s_mov_b32 s20, exec_lo
	s_waitcnt lgkmcnt(0)
	s_delay_alu instid0(VALU_DEP_1)
	v_cmpx_lt_u64_e64 v[10:11], v[50:51]
	s_cbranch_execz .LBB0_107
; %bb.97:                               ;   in Loop: Header=BB0_70 Depth=1
	s_mov_b32 s21, 0
	s_mov_b32 s24, 0
                                        ; implicit-def: $sgpr22
                                        ; implicit-def: $sgpr23
	s_branch .LBB0_99
.LBB0_98:                               ;   in Loop: Header=BB0_99 Depth=2
	s_or_b32 exec_lo, exec_lo, s27
	s_delay_alu instid0(SALU_CYCLE_1) | instskip(NEXT) | instid1(SALU_CYCLE_1)
	s_and_b32 s25, exec_lo, s26
	s_or_b32 s21, s25, s21
	s_and_not1_b32 s22, s22, exec_lo
	s_and_b32 s25, s23, exec_lo
	s_delay_alu instid0(SALU_CYCLE_1)
	s_or_b32 s22, s22, s25
	s_and_not1_b32 exec_lo, exec_lo, s21
	s_cbranch_execz .LBB0_105
.LBB0_99:                               ;   Parent Loop BB0_70 Depth=1
                                        ; =>  This Inner Loop Header: Depth=2
	s_add_i32 s24, s24, 1
                                        ; implicit-def: $sgpr26
	s_delay_alu instid0(SALU_CYCLE_1) | instskip(SKIP_1) | instid1(SALU_CYCLE_1)
	s_cmpk_lg_i32 s24, 0x2710
	s_cselect_b32 s25, -1, 0
	s_and_b32 vcc_lo, exec_lo, s25
	s_cbranch_vccz .LBB0_103
.LBB0_100:                              ;   in Loop: Header=BB0_99 Depth=2
	s_and_not1_b32 s23, s23, exec_lo
	s_and_b32 s27, s26, exec_lo
	s_mov_b32 s26, -1
	s_or_b32 s23, s23, s27
	s_and_saveexec_b32 s27, s25
	s_cbranch_execz .LBB0_98
; %bb.101:                              ;   in Loop: Header=BB0_99 Depth=2
	s_sleep 1
	s_cbranch_execnz .LBB0_435
; %bb.102:                              ;   in Loop: Header=BB0_99 Depth=2
	ds_load_b64 v[10:11], v0
	s_and_not1_b32 s23, s23, exec_lo
	s_waitcnt lgkmcnt(0)
	v_cmp_ge_u64_e32 vcc_lo, v[10:11], v[50:51]
	s_or_not1_b32 s26, vcc_lo, exec_lo
	s_branch .LBB0_98
.LBB0_103:                              ;   in Loop: Header=BB0_99 Depth=2
	s_cbranch_execnz .LBB0_437
; %bb.104:                              ;   in Loop: Header=BB0_99 Depth=2
	ds_load_b64 v[10:11], v0
	s_and_not1_b32 s25, s25, exec_lo
	s_mov_b32 s24, 0
	s_mov_b32 s26, -1
	s_waitcnt lgkmcnt(0)
	flat_load_b32 v10, v[10:11] glc
	s_waitcnt vmcnt(0) lgkmcnt(0)
	buffer_gl1_inv
	buffer_gl0_inv
	v_cmp_eq_u32_e32 vcc_lo, 0, v10
	s_and_b32 s27, vcc_lo, exec_lo
	s_delay_alu instid0(SALU_CYCLE_1)
	s_or_b32 s25, s25, s27
	s_branch .LBB0_100
.LBB0_105:                              ;   in Loop: Header=BB0_70 Depth=1
	s_or_b32 exec_lo, exec_lo, s21
	s_and_saveexec_b32 s21, s22
	s_delay_alu instid0(SALU_CYCLE_1)
	s_xor_b32 s21, exec_lo, s21
	s_cbranch_execz .LBB0_107
; %bb.106:                              ;   in Loop: Header=BB0_70 Depth=1
	ds_store_b32 v0, v118
	s_cbranch_execnz .LBB0_465
.LBB0_107:                              ;   in Loop: Header=BB0_70 Depth=1
	s_or_b32 exec_lo, exec_lo, s20
	;;#ASMSTART
	s_wakeup
	;;#ASMEND
.LBB0_108:                              ;   in Loop: Header=BB0_70 Depth=1
	s_or_b32 exec_lo, exec_lo, s19
.LBB0_109:                              ;   in Loop: Header=BB0_70 Depth=1
	s_and_not1_saveexec_b32 s10, s10
	s_cbranch_execz .LBB0_111
; %bb.110:                              ;   in Loop: Header=BB0_70 Depth=1
	s_waitcnt vmcnt(0) lgkmcnt(0)
	s_waitcnt_vscnt null, 0x0
	buffer_gl1_inv
	buffer_gl0_inv
	s_barrier
.LBB0_111:                              ;   in Loop: Header=BB0_70 Depth=1
	s_or_b32 exec_lo, exec_lo, s10
.LBB0_112:                              ;   in Loop: Header=BB0_70 Depth=1
	s_delay_alu instid0(SALU_CYCLE_1) | instskip(SKIP_3) | instid1(VALU_DEP_2)
	s_or_b32 exec_lo, exec_lo, s9
	v_sub_nc_u32_e32 v52, v12, v100
	v_mov_b32_e32 v82, v0
	s_mov_b32 s19, exec_lo
	v_cmpx_lt_i32_e32 0, v52
	s_cbranch_execz .LBB0_152
; %bb.113:                              ;   in Loop: Header=BB0_70 Depth=1
	v_and_b32_e32 v10, 7, v24
	v_dual_mov_b32 v14, v34 :: v_dual_and_b32 v11, 7, v34
	v_add_co_u32 v84, vcc_lo, v112, v13
	s_delay_alu instid0(VALU_DEP_3) | instskip(NEXT) | instid1(VALU_DEP_3)
	v_mul_lo_u32 v10, v10, s14
	v_mul_lo_u32 v16, v11, s14
	v_add_co_ci_u32_e32 v85, vcc_lo, v113, v15, vcc_lo
	v_add_nc_u32_e32 v128, 1, v24
	v_mov_b32_e32 v82, v0
	s_mov_b32 s20, 0
	v_ashrrev_i32_e32 v11, 31, v10
	v_ashrrev_i32_e32 v17, 31, v16
	s_delay_alu instid0(VALU_DEP_2) | instskip(NEXT) | instid1(VALU_DEP_2)
	v_lshlrev_b64 v[10:11], 4, v[10:11]
	v_lshlrev_b64 v[12:13], 4, v[16:17]
	s_delay_alu instid0(VALU_DEP_2) | instskip(NEXT) | instid1(VALU_DEP_3)
	v_add_co_u32 v129, vcc_lo, v22, v10
	v_add_co_ci_u32_e32 v130, vcc_lo, v23, v11, vcc_lo
	s_delay_alu instid0(VALU_DEP_3) | instskip(NEXT) | instid1(VALU_DEP_4)
	v_add_co_u32 v131, vcc_lo, v32, v12
	v_add_co_ci_u32_e32 v132, vcc_lo, v33, v13, vcc_lo
	v_add_co_u32 v133, vcc_lo, 0, 0
	v_add_co_ci_u32_e32 v11, vcc_lo, 1, v14, vcc_lo
	s_branch .LBB0_115
.LBB0_114:                              ;   in Loop: Header=BB0_115 Depth=2
	v_sub_nc_u32_e32 v52, v52, v102
	v_add_co_u32 v84, s9, v84, v102
	s_delay_alu instid0(VALU_DEP_1) | instskip(NEXT) | instid1(VALU_DEP_3)
	v_add_co_ci_u32_e64 v85, s9, v85, v114, s9
	v_cmp_gt_i32_e32 vcc_lo, 1, v52
	v_add_nc_u32_e32 v82, v82, v2
	s_or_b32 s20, vcc_lo, s20
	s_delay_alu instid0(SALU_CYCLE_1)
	s_and_not1_b32 exec_lo, exec_lo, s20
	s_cbranch_execz .LBB0_151
.LBB0_115:                              ;   Parent Loop BB0_70 Depth=1
                                        ; =>  This Loop Header: Depth=2
                                        ;       Child Loop BB0_119 Depth 3
	s_delay_alu instid0(VALU_DEP_1) | instskip(NEXT) | instid1(VALU_DEP_1)
	v_ashrrev_i32_e32 v83, 31, v82
	v_lshlrev_b64 v[12:13], 4, v[82:83]
	s_delay_alu instid0(VALU_DEP_1) | instskip(NEXT) | instid1(VALU_DEP_2)
	v_add_co_u32 v96, vcc_lo, v129, v12
	v_add_co_ci_u32_e32 v97, vcc_lo, v130, v13, vcc_lo
	;;#ASMSTART
	global_load_b128 v[14:17], v[96:97], off glc slc dlc
s_waitcnt vmcnt(0)

	;;#ASMEND
	v_lshrrev_b64 v[86:87], 24, v[14:15]
	v_cmp_eq_u32_e32 vcc_lo, 0, v119
	v_lshrrev_b32_e32 v83, 8, v14
	v_lshrrev_b32_e32 v87, 16, v14
	s_and_saveexec_b32 s21, vcc_lo
	s_cbranch_execz .LBB0_133
; %bb.116:                              ;   in Loop: Header=BB0_115 Depth=2
	v_cmp_ne_u32_e64 s9, v128, v15
	v_cmp_ne_u32_e64 s10, v128, v17
	v_mov_b32_e32 v119, 0
	s_delay_alu instid0(VALU_DEP_2) | instskip(NEXT) | instid1(SALU_CYCLE_1)
	s_or_b32 s9, s9, s10
	s_and_saveexec_b32 s10, s9
	s_cbranch_execz .LBB0_132
; %bb.117:                              ;   in Loop: Header=BB0_115 Depth=2
	v_cndmask_b32_e64 v10, 0, 1, vcc_lo
	s_mov_b32 s22, 0
                                        ; implicit-def: $sgpr23
                                        ; implicit-def: $sgpr24
	s_branch .LBB0_119
.LBB0_118:                              ;   in Loop: Header=BB0_119 Depth=3
	s_or_b32 exec_lo, exec_lo, s25
	s_delay_alu instid0(SALU_CYCLE_1) | instskip(NEXT) | instid1(SALU_CYCLE_1)
	s_and_b32 s9, exec_lo, s9
	s_or_b32 s22, s9, s22
	s_and_not1_b32 s9, s23, exec_lo
	s_and_b32 s23, s24, exec_lo
	s_delay_alu instid0(SALU_CYCLE_1)
	s_or_b32 s23, s9, s23
	s_and_not1_b32 exec_lo, exec_lo, s22
	s_cbranch_execz .LBB0_127
.LBB0_119:                              ;   Parent Loop BB0_70 Depth=1
                                        ;     Parent Loop BB0_115 Depth=2
                                        ; =>    This Inner Loop Header: Depth=3
	s_delay_alu instid0(VALU_DEP_1)
	v_dual_mov_b32 v119, 0 :: v_dual_add_nc_u32 v10, 1, v10
	s_mov_b32 s9, -1
	s_mov_b32 s26, -1
	s_mov_b32 s25, exec_lo
	;;#ASMSTART
	global_load_b128 v[14:17], v[96:97], off glc slc dlc
s_waitcnt vmcnt(0)

	;;#ASMEND
	v_cmpx_eq_u32_e32 0x2710, v10
	s_cbranch_execz .LBB0_125
; %bb.120:                              ;   in Loop: Header=BB0_119 Depth=3
	s_cbranch_execnz .LBB0_367
; %bb.121:                              ;   in Loop: Header=BB0_119 Depth=3
	ds_load_b64 v[86:87], v0
	v_dual_mov_b32 v10, 0 :: v_dual_mov_b32 v119, 0
	s_mov_b32 s27, -1
	s_mov_b32 s26, exec_lo
	s_waitcnt vmcnt(0) lgkmcnt(0)
	s_waitcnt_vscnt null, 0x0
	flat_load_b32 v83, v[86:87] glc
	s_waitcnt vmcnt(0) lgkmcnt(0)
	buffer_gl1_inv
	buffer_gl0_inv
	v_cmpx_ne_u32_e32 0, v83
	s_cbranch_execz .LBB0_124
; %bb.122:                              ;   in Loop: Header=BB0_119 Depth=3
	ds_store_b32 v0, v83
	s_cbranch_execnz .LBB0_386
; %bb.123:                              ;   in Loop: Header=BB0_119 Depth=3
	v_mov_b32_e32 v119, 1
	s_xor_b32 s27, exec_lo, -1
.LBB0_124:                              ;   in Loop: Header=BB0_119 Depth=3
	s_or_b32 exec_lo, exec_lo, s26
	s_delay_alu instid0(SALU_CYCLE_1)
	s_or_not1_b32 s26, s27, exec_lo
.LBB0_125:                              ;   in Loop: Header=BB0_119 Depth=3
	s_or_b32 exec_lo, exec_lo, s25
	s_delay_alu instid0(SALU_CYCLE_1)
	s_or_b32 s24, s24, exec_lo
	s_and_saveexec_b32 s25, s26
	s_cbranch_execz .LBB0_118
; %bb.126:                              ;   in Loop: Header=BB0_119 Depth=3
	v_cmp_eq_u32_e32 vcc_lo, v128, v15
	v_cmp_eq_u32_e64 s9, v128, v17
	s_and_not1_b32 s24, s24, exec_lo
	s_delay_alu instid0(VALU_DEP_1) | instskip(NEXT) | instid1(SALU_CYCLE_1)
	s_and_b32 s9, vcc_lo, s9
	s_or_not1_b32 s9, s9, exec_lo
	s_branch .LBB0_118
.LBB0_127:                              ;   in Loop: Header=BB0_115 Depth=2
	s_or_b32 exec_lo, exec_lo, s22
	s_xor_b32 s9, s23, -1
                                        ; implicit-def: $vgpr86
                                        ; implicit-def: $vgpr87
                                        ; implicit-def: $vgpr83
	s_delay_alu instid0(SALU_CYCLE_1) | instskip(NEXT) | instid1(SALU_CYCLE_1)
	s_and_saveexec_b32 s22, s9
	s_xor_b32 s9, exec_lo, s22
; %bb.128:                              ;   in Loop: Header=BB0_115 Depth=2
	v_lshrrev_b64 v[86:87], 24, v[14:15]
	v_lshrrev_b32_e32 v83, 8, v14
	v_lshrrev_b32_e32 v87, 16, v14
; %bb.129:                              ;   in Loop: Header=BB0_115 Depth=2
	s_and_not1_saveexec_b32 s9, s9
; %bb.130:                              ;   in Loop: Header=BB0_115 Depth=2
	v_lshrrev_b64 v[86:87], 24, v[14:15]
	v_lshrrev_b32_e32 v83, 8, v14
	v_lshrrev_b32_e32 v87, 16, v14
; %bb.131:                              ;   in Loop: Header=BB0_115 Depth=2
	s_or_b32 exec_lo, exec_lo, s9
.LBB0_132:                              ;   in Loop: Header=BB0_115 Depth=2
	s_delay_alu instid0(SALU_CYCLE_1)
	s_or_b32 exec_lo, exec_lo, s10
.LBB0_133:                              ;   in Loop: Header=BB0_115 Depth=2
	s_delay_alu instid0(SALU_CYCLE_1)
	s_or_b32 exec_lo, exec_lo, s21
	v_add_co_u32 v96, vcc_lo, v131, v12
	v_add_co_ci_u32_e32 v97, vcc_lo, v132, v13, vcc_lo
	v_cmp_lt_u32_e32 vcc_lo, 7, v52
	v_or_b32_e32 v10, v14, v133
	v_or_b32_e32 v12, v16, v133
	v_mov_b32_e32 v13, v11
	v_cndmask_b32_e64 v15, 0, 1, vcc_lo
	global_store_b128 v[96:97], v[10:13], off
	;;#ASMSTART
	;;#ASMEND
	v_cmp_ne_u32_e64 s9, 0, v15
	s_delay_alu instid0(VALU_DEP_1)
	s_cmp_lg_u32 s9, exec_lo
	s_mov_b32 s9, -1
	s_cbranch_scc0 .LBB0_149
; %bb.134:                              ;   in Loop: Header=BB0_115 Depth=2
	s_mov_b32 s10, exec_lo
	flat_store_b8 v[84:85], v14
	v_cmpx_ne_u32_e32 1, v52
	s_cbranch_execz .LBB0_136
; %bb.135:                              ;   in Loop: Header=BB0_115 Depth=2
	flat_store_b8 v[84:85], v83 offset:1
.LBB0_136:                              ;   in Loop: Header=BB0_115 Depth=2
	s_or_b32 exec_lo, exec_lo, s10
	s_delay_alu instid0(SALU_CYCLE_1)
	s_mov_b32 s10, exec_lo
	v_cmpx_lt_u32_e32 2, v52
	s_cbranch_execz .LBB0_138
; %bb.137:                              ;   in Loop: Header=BB0_115 Depth=2
	flat_store_b8 v[84:85], v87 offset:2
.LBB0_138:                              ;   in Loop: Header=BB0_115 Depth=2
	s_or_b32 exec_lo, exec_lo, s10
	s_delay_alu instid0(SALU_CYCLE_1)
	s_mov_b32 s10, exec_lo
	v_cmpx_lt_u32_e32 3, v52
	;; [unrolled: 8-line block ×4, first 2 shown]
	s_cbranch_execz .LBB0_144
; %bb.143:                              ;   in Loop: Header=BB0_115 Depth=2
	v_lshrrev_b32_e32 v10, 8, v16
	flat_store_b8 v[84:85], v10 offset:5
.LBB0_144:                              ;   in Loop: Header=BB0_115 Depth=2
	s_or_b32 exec_lo, exec_lo, s10
	s_delay_alu instid0(SALU_CYCLE_1)
	s_mov_b32 s10, exec_lo
	v_cmpx_lt_u32_e32 6, v52
	s_cbranch_execz .LBB0_146
; %bb.145:                              ;   in Loop: Header=BB0_115 Depth=2
	flat_store_d16_hi_b8 v[84:85], v16 offset:6
.LBB0_146:                              ;   in Loop: Header=BB0_115 Depth=2
	s_or_b32 exec_lo, exec_lo, s10
	s_and_saveexec_b32 s9, vcc_lo
	s_cbranch_execz .LBB0_148
; %bb.147:                              ;   in Loop: Header=BB0_115 Depth=2
	v_lshrrev_b32_e32 v10, 24, v16
	flat_store_b8 v[84:85], v10 offset:7
.LBB0_148:                              ;   in Loop: Header=BB0_115 Depth=2
	s_or_b32 exec_lo, exec_lo, s9
	s_mov_b32 s9, 0
.LBB0_149:                              ;   in Loop: Header=BB0_115 Depth=2
	s_delay_alu instid0(SALU_CYCLE_1)
	s_and_b32 vcc_lo, exec_lo, s9
	s_cbranch_vccz .LBB0_114
; %bb.150:                              ;   in Loop: Header=BB0_115 Depth=2
	v_or_b32_e32 v15, 0, v16
	global_store_b64 v[84:85], v[14:15], off
	s_branch .LBB0_114
.LBB0_151:                              ;   in Loop: Header=BB0_70 Depth=1
	s_or_b32 exec_lo, exec_lo, s20
.LBB0_152:                              ;   in Loop: Header=BB0_70 Depth=1
	s_delay_alu instid0(SALU_CYCLE_1)
	s_or_b32 exec_lo, exec_lo, s19
	s_and_saveexec_b32 s9, s5
	s_cbranch_execz .LBB0_174
; %bb.153:                              ;   in Loop: Header=BB0_70 Depth=1
	s_and_saveexec_b32 s10, s6
	s_delay_alu instid0(SALU_CYCLE_1)
	s_xor_b32 s10, exec_lo, s10
	s_cbranch_execz .LBB0_171
; %bb.154:                              ;   in Loop: Header=BB0_70 Depth=1
	s_and_saveexec_b32 s19, s7
	s_cbranch_execz .LBB0_170
; %bb.155:                              ;   in Loop: Header=BB0_70 Depth=1
	s_mov_b32 s21, exec_lo
	s_mov_b32 s20, exec_lo
	v_mbcnt_lo_u32_b32 v10, s21, 0
	s_waitcnt vmcnt(0) lgkmcnt(0)
	s_waitcnt_vscnt null, 0x0
	buffer_gl1_inv
	buffer_gl0_inv
	v_cmpx_eq_u32_e32 0, v10
	s_cbranch_execz .LBB0_157
; %bb.156:                              ;   in Loop: Header=BB0_70 Depth=1
	s_bcnt1_i32_b32 s21, s21
	s_delay_alu instid0(SALU_CYCLE_1)
	v_mov_b32_e32 v52, s21
	ds_add_u64 v0, v[52:53]
	s_cbranch_execnz .LBB0_431
.LBB0_157:                              ;   in Loop: Header=BB0_70 Depth=1
	s_or_b32 exec_lo, exec_lo, s20
	s_cbranch_execnz .LBB0_417
; %bb.158:                              ;   in Loop: Header=BB0_70 Depth=1
	ds_load_b64 v[10:11], v0
	v_add_co_u32 v50, vcc_lo, v50, v99
	v_add_co_ci_u32_e32 v51, vcc_lo, v51, v101, vcc_lo
	s_mov_b32 s20, exec_lo
	s_waitcnt lgkmcnt(0)
	s_delay_alu instid0(VALU_DEP_1)
	v_cmpx_lt_u64_e64 v[10:11], v[50:51]
	s_cbranch_execz .LBB0_169
; %bb.159:                              ;   in Loop: Header=BB0_70 Depth=1
	s_mov_b32 s21, 0
	s_mov_b32 s24, 0
                                        ; implicit-def: $sgpr22
                                        ; implicit-def: $sgpr23
	s_branch .LBB0_161
.LBB0_160:                              ;   in Loop: Header=BB0_161 Depth=2
	s_or_b32 exec_lo, exec_lo, s27
	s_delay_alu instid0(SALU_CYCLE_1) | instskip(NEXT) | instid1(SALU_CYCLE_1)
	s_and_b32 s25, exec_lo, s26
	s_or_b32 s21, s25, s21
	s_and_not1_b32 s22, s22, exec_lo
	s_and_b32 s25, s23, exec_lo
	s_delay_alu instid0(SALU_CYCLE_1)
	s_or_b32 s22, s22, s25
	s_and_not1_b32 exec_lo, exec_lo, s21
	s_cbranch_execz .LBB0_167
.LBB0_161:                              ;   Parent Loop BB0_70 Depth=1
                                        ; =>  This Inner Loop Header: Depth=2
	s_add_i32 s24, s24, 1
                                        ; implicit-def: $sgpr26
	s_delay_alu instid0(SALU_CYCLE_1) | instskip(SKIP_1) | instid1(SALU_CYCLE_1)
	s_cmpk_lg_i32 s24, 0x2710
	s_cselect_b32 s25, -1, 0
	s_and_b32 vcc_lo, exec_lo, s25
	s_cbranch_vccz .LBB0_165
.LBB0_162:                              ;   in Loop: Header=BB0_161 Depth=2
	s_and_not1_b32 s23, s23, exec_lo
	s_and_b32 s27, s26, exec_lo
	s_mov_b32 s26, -1
	s_or_b32 s23, s23, s27
	s_and_saveexec_b32 s27, s25
	s_cbranch_execz .LBB0_160
; %bb.163:                              ;   in Loop: Header=BB0_161 Depth=2
	s_sleep 1
	s_cbranch_execnz .LBB0_447
; %bb.164:                              ;   in Loop: Header=BB0_161 Depth=2
	ds_load_b64 v[10:11], v0
	s_and_not1_b32 s23, s23, exec_lo
	s_waitcnt lgkmcnt(0)
	v_cmp_ge_u64_e32 vcc_lo, v[10:11], v[50:51]
	s_or_not1_b32 s26, vcc_lo, exec_lo
	s_branch .LBB0_160
.LBB0_165:                              ;   in Loop: Header=BB0_161 Depth=2
	s_cbranch_execnz .LBB0_451
; %bb.166:                              ;   in Loop: Header=BB0_161 Depth=2
	ds_load_b64 v[10:11], v0
	s_and_not1_b32 s25, s25, exec_lo
	s_mov_b32 s24, 0
	s_mov_b32 s26, -1
	s_waitcnt lgkmcnt(0)
	flat_load_b32 v10, v[10:11] glc
	s_waitcnt vmcnt(0) lgkmcnt(0)
	buffer_gl1_inv
	buffer_gl0_inv
	v_cmp_eq_u32_e32 vcc_lo, 0, v10
	s_and_b32 s27, vcc_lo, exec_lo
	s_delay_alu instid0(SALU_CYCLE_1)
	s_or_b32 s25, s25, s27
	s_branch .LBB0_162
.LBB0_167:                              ;   in Loop: Header=BB0_70 Depth=1
	s_or_b32 exec_lo, exec_lo, s21
	s_and_saveexec_b32 s21, s22
	s_delay_alu instid0(SALU_CYCLE_1)
	s_xor_b32 s21, exec_lo, s21
	s_cbranch_execz .LBB0_169
; %bb.168:                              ;   in Loop: Header=BB0_70 Depth=1
	ds_store_b32 v0, v118
	s_cbranch_execnz .LBB0_471
.LBB0_169:                              ;   in Loop: Header=BB0_70 Depth=1
	s_or_b32 exec_lo, exec_lo, s20
	;;#ASMSTART
	s_wakeup
	;;#ASMEND
.LBB0_170:                              ;   in Loop: Header=BB0_70 Depth=1
	s_or_b32 exec_lo, exec_lo, s19
.LBB0_171:                              ;   in Loop: Header=BB0_70 Depth=1
	s_and_not1_saveexec_b32 s10, s10
	s_cbranch_execz .LBB0_173
; %bb.172:                              ;   in Loop: Header=BB0_70 Depth=1
	s_waitcnt vmcnt(0) lgkmcnt(0)
	s_waitcnt_vscnt null, 0x0
	buffer_gl1_inv
	buffer_gl0_inv
	s_barrier
.LBB0_173:                              ;   in Loop: Header=BB0_70 Depth=1
	s_or_b32 exec_lo, exec_lo, s10
.LBB0_174:                              ;   in Loop: Header=BB0_70 Depth=1
	s_delay_alu instid0(SALU_CYCLE_1)
	s_or_b32 exec_lo, exec_lo, s9
	s_and_saveexec_b32 s9, s8
	s_cbranch_execz .LBB0_176
; %bb.175:                              ;   in Loop: Header=BB0_70 Depth=1
	v_add_co_u32 v36, vcc_lo, v36, 1
	v_add_co_ci_u32_e32 v37, vcc_lo, 0, v37, vcc_lo
	s_waitcnt vmcnt(0) lgkmcnt(0)
	s_waitcnt_vscnt null, 0x0
	flat_store_b64 v[28:29], v[36:37]
.LBB0_176:                              ;   in Loop: Header=BB0_70 Depth=1
	s_or_b32 exec_lo, exec_lo, s9
	v_and_b32_e32 v52, 0x7ffffff8, v34
	v_cmp_gt_i32_e64 s9, s14, v82
	s_delay_alu instid0(VALU_DEP_2) | instskip(NEXT) | instid1(VALU_DEP_2)
	v_cmp_eq_u64_e32 vcc_lo, 0x7ffffff8, v[52:53]
	s_and_b32 s9, vcc_lo, s9
	s_delay_alu instid0(SALU_CYCLE_1)
	s_and_saveexec_b32 s10, s9
	s_cbranch_execz .LBB0_179
; %bb.177:                              ;   in Loop: Header=BB0_70 Depth=1
	v_and_b32_e32 v10, 7, v34
	v_ashrrev_i32_e32 v83, 31, v82
	v_mov_b32_e32 v14, v34
	s_mov_b32 s19, 0
	s_delay_alu instid0(VALU_DEP_3) | instskip(NEXT) | instid1(VALU_DEP_3)
	v_mul_lo_u32 v10, v10, s14
	v_lshlrev_b64 v[12:13], 4, v[82:83]
	s_delay_alu instid0(VALU_DEP_2) | instskip(NEXT) | instid1(VALU_DEP_1)
	v_ashrrev_i32_e32 v11, 31, v10
	v_lshlrev_b64 v[10:11], 4, v[10:11]
	s_delay_alu instid0(VALU_DEP_1) | instskip(NEXT) | instid1(VALU_DEP_2)
	v_add_co_u32 v12, vcc_lo, v12, v10
	v_add_co_ci_u32_e32 v13, vcc_lo, v13, v11, vcc_lo
	v_add_co_u32 v10, vcc_lo, 0, 0
	v_add_co_ci_u32_e32 v11, vcc_lo, 1, v14, vcc_lo
	s_delay_alu instid0(VALU_DEP_4) | instskip(NEXT) | instid1(VALU_DEP_4)
	v_add_co_u32 v14, vcc_lo, v32, v12
	v_add_co_ci_u32_e32 v15, vcc_lo, v33, v13, vcc_lo
.LBB0_178:                              ;   Parent Loop BB0_70 Depth=1
                                        ; =>  This Inner Loop Header: Depth=2
	s_delay_alu instid0(VALU_DEP_3) | instskip(SKIP_4) | instid1(VALU_DEP_1)
	v_dual_mov_b32 v12, v10 :: v_dual_mov_b32 v13, v11
	v_add_nc_u32_e32 v82, v82, v2
	global_store_b128 v[14:15], v[10:13], off
	v_cmp_le_i32_e32 vcc_lo, s14, v82
	v_add_co_u32 v14, s9, v14, v68
	v_add_co_ci_u32_e64 v15, s9, v15, v69, s9
	s_or_b32 s19, vcc_lo, s19
	s_delay_alu instid0(SALU_CYCLE_1)
	s_and_not1_b32 exec_lo, exec_lo, s19
	s_cbranch_execnz .LBB0_178
.LBB0_179:                              ;   in Loop: Header=BB0_70 Depth=1
	s_or_b32 exec_lo, exec_lo, s10
	v_add_co_u32 v24, vcc_lo, v24, 1
	v_add_co_ci_u32_e32 v25, vcc_lo, 0, v25, vcc_lo
	v_add_co_u32 v34, vcc_lo, v34, 1
	v_add_co_ci_u32_e32 v35, vcc_lo, 0, v35, vcc_lo
                                        ; implicit-def: $vgpr12
                                        ; implicit-def: $vgpr13
                                        ; implicit-def: $vgpr15
.LBB0_180:                              ;   in Loop: Header=BB0_70 Depth=1
	s_and_not1_saveexec_b32 s18, s18
	s_cbranch_execz .LBB0_242
; %bb.181:                              ;   in Loop: Header=BB0_70 Depth=1
	v_sub_nc_u32_e32 v52, v12, v100
	s_mov_b32 s19, exec_lo
	s_delay_alu instid0(VALU_DEP_1)
	v_cmpx_lt_i32_e32 0, v52
	s_cbranch_execz .LBB0_217
; %bb.182:                              ;   in Loop: Header=BB0_70 Depth=1
	v_and_b32_e32 v10, 7, v24
	v_add_co_u32 v14, vcc_lo, v112, v13
	v_add_co_ci_u32_e32 v15, vcc_lo, v113, v15, vcc_lo
	s_delay_alu instid0(VALU_DEP_3) | instskip(SKIP_3) | instid1(VALU_DEP_3)
	v_mul_lo_u32 v10, v10, s14
	v_add_nc_u32_e32 v86, 1, v24
	v_mov_b32_e32 v16, v0
	s_mov_b32 s20, 0
	v_ashrrev_i32_e32 v11, 31, v10
	s_delay_alu instid0(VALU_DEP_1) | instskip(NEXT) | instid1(VALU_DEP_1)
	v_lshlrev_b64 v[10:11], 4, v[10:11]
	v_add_co_u32 v87, vcc_lo, v22, v10
	s_delay_alu instid0(VALU_DEP_2)
	v_add_co_ci_u32_e32 v96, vcc_lo, v23, v11, vcc_lo
	s_branch .LBB0_184
.LBB0_183:                              ;   in Loop: Header=BB0_184 Depth=2
	v_sub_nc_u32_e32 v52, v52, v102
	v_add_co_u32 v14, s9, v14, v102
	s_delay_alu instid0(VALU_DEP_1) | instskip(NEXT) | instid1(VALU_DEP_3)
	v_add_co_ci_u32_e64 v15, s9, v15, v114, s9
	v_cmp_gt_i32_e32 vcc_lo, 1, v52
	v_add_nc_u32_e32 v16, v16, v2
	s_or_b32 s20, vcc_lo, s20
	s_delay_alu instid0(SALU_CYCLE_1)
	s_and_not1_b32 exec_lo, exec_lo, s20
	s_cbranch_execz .LBB0_216
.LBB0_184:                              ;   Parent Loop BB0_70 Depth=1
                                        ; =>  This Loop Header: Depth=2
                                        ;       Child Loop BB0_188 Depth 3
	s_delay_alu instid0(VALU_DEP_1) | instskip(NEXT) | instid1(VALU_DEP_1)
	v_ashrrev_i32_e32 v17, 31, v16
	v_lshlrev_b64 v[10:11], 4, v[16:17]
	s_delay_alu instid0(VALU_DEP_1) | instskip(NEXT) | instid1(VALU_DEP_2)
	v_add_co_u32 v84, vcc_lo, v87, v10
	v_add_co_ci_u32_e32 v85, vcc_lo, v96, v11, vcc_lo
	;;#ASMSTART
	global_load_b128 v[10:13], v[84:85], off glc slc dlc
s_waitcnt vmcnt(0)

	;;#ASMEND
	v_lshrrev_b64 v[82:83], 24, v[10:11]
	v_cmp_eq_u32_e32 vcc_lo, 0, v119
	v_lshrrev_b32_e32 v97, 8, v10
	v_lshrrev_b32_e32 v17, 16, v10
	s_and_saveexec_b32 s21, vcc_lo
	s_cbranch_execz .LBB0_198
; %bb.185:                              ;   in Loop: Header=BB0_184 Depth=2
	v_cmp_ne_u32_e64 s9, v86, v11
	v_cmp_ne_u32_e64 s10, v86, v13
	v_mov_b32_e32 v119, 0
	s_delay_alu instid0(VALU_DEP_2) | instskip(NEXT) | instid1(SALU_CYCLE_1)
	s_or_b32 s9, s9, s10
	s_and_saveexec_b32 s10, s9
	s_cbranch_execz .LBB0_197
; %bb.186:                              ;   in Loop: Header=BB0_184 Depth=2
	v_cndmask_b32_e64 v17, 0, 1, vcc_lo
	s_mov_b32 s23, 0
                                        ; implicit-def: $sgpr22
                                        ; implicit-def: $sgpr24
	s_branch .LBB0_188
.LBB0_187:                              ;   in Loop: Header=BB0_188 Depth=3
	s_or_b32 exec_lo, exec_lo, s25
	s_delay_alu instid0(SALU_CYCLE_1) | instskip(NEXT) | instid1(SALU_CYCLE_1)
	s_and_b32 s9, exec_lo, s9
	s_or_b32 s23, s9, s23
	s_and_not1_b32 s9, s22, exec_lo
	s_and_b32 s22, s24, exec_lo
	s_delay_alu instid0(SALU_CYCLE_1)
	s_or_b32 s22, s9, s22
	s_and_not1_b32 exec_lo, exec_lo, s23
	s_cbranch_execz .LBB0_196
.LBB0_188:                              ;   Parent Loop BB0_70 Depth=1
                                        ;     Parent Loop BB0_184 Depth=2
                                        ; =>    This Inner Loop Header: Depth=3
	s_delay_alu instid0(VALU_DEP_1)
	v_add_nc_u32_e32 v17, 1, v17
	v_mov_b32_e32 v119, 0
	s_mov_b32 s9, -1
	s_mov_b32 s26, -1
	s_mov_b32 s25, exec_lo
	;;#ASMSTART
	global_load_b128 v[10:13], v[84:85], off glc slc dlc
s_waitcnt vmcnt(0)

	;;#ASMEND
	v_cmpx_eq_u32_e32 0x2710, v17
	s_cbranch_execz .LBB0_194
; %bb.189:                              ;   in Loop: Header=BB0_188 Depth=3
	s_cbranch_execnz .LBB0_369
; %bb.190:                              ;   in Loop: Header=BB0_188 Depth=3
	ds_load_b64 v[82:83], v0
	v_mov_b32_e32 v17, 0
	v_mov_b32_e32 v119, 0
	s_mov_b32 s27, -1
	s_mov_b32 s26, exec_lo
	s_waitcnt vmcnt(0) lgkmcnt(0)
	s_waitcnt_vscnt null, 0x0
	flat_load_b32 v82, v[82:83] glc
	s_waitcnt vmcnt(0) lgkmcnt(0)
	buffer_gl1_inv
	buffer_gl0_inv
	v_cmpx_ne_u32_e32 0, v82
	s_cbranch_execz .LBB0_193
; %bb.191:                              ;   in Loop: Header=BB0_188 Depth=3
	ds_store_b32 v0, v82
	s_cbranch_execnz .LBB0_392
; %bb.192:                              ;   in Loop: Header=BB0_188 Depth=3
	v_mov_b32_e32 v119, 1
	s_xor_b32 s27, exec_lo, -1
.LBB0_193:                              ;   in Loop: Header=BB0_188 Depth=3
	s_or_b32 exec_lo, exec_lo, s26
	s_delay_alu instid0(SALU_CYCLE_1)
	s_or_not1_b32 s26, s27, exec_lo
.LBB0_194:                              ;   in Loop: Header=BB0_188 Depth=3
	s_or_b32 exec_lo, exec_lo, s25
	s_delay_alu instid0(SALU_CYCLE_1)
	s_or_b32 s24, s24, exec_lo
	s_and_saveexec_b32 s25, s26
	s_cbranch_execz .LBB0_187
; %bb.195:                              ;   in Loop: Header=BB0_188 Depth=3
	v_cmp_eq_u32_e32 vcc_lo, v86, v11
	v_cmp_eq_u32_e64 s9, v86, v13
	s_and_not1_b32 s24, s24, exec_lo
	s_delay_alu instid0(VALU_DEP_1) | instskip(NEXT) | instid1(SALU_CYCLE_1)
	s_and_b32 s9, vcc_lo, s9
	s_or_not1_b32 s9, s9, exec_lo
	s_branch .LBB0_187
.LBB0_196:                              ;   in Loop: Header=BB0_184 Depth=2
	s_or_b32 exec_lo, exec_lo, s23
	v_lshrrev_b64 v[82:83], 24, v[10:11]
	v_lshrrev_b32_e32 v97, 8, v10
	v_lshrrev_b32_e32 v17, 16, v10
	s_xor_b32 s9, s22, -1
	s_delay_alu instid0(SALU_CYCLE_1) | instskip(NEXT) | instid1(SALU_CYCLE_1)
	s_and_saveexec_b32 s22, s9
	s_xor_b32 s9, exec_lo, s22
	s_delay_alu instid0(SALU_CYCLE_1) | instskip(NEXT) | instid1(SALU_CYCLE_1)
	s_and_not1_saveexec_b32 s9, s9
	s_or_b32 exec_lo, exec_lo, s9
.LBB0_197:                              ;   in Loop: Header=BB0_184 Depth=2
	s_delay_alu instid0(SALU_CYCLE_1)
	s_or_b32 exec_lo, exec_lo, s10
.LBB0_198:                              ;   in Loop: Header=BB0_184 Depth=2
	s_delay_alu instid0(SALU_CYCLE_1) | instskip(SKIP_3) | instid1(VALU_DEP_1)
	s_or_b32 exec_lo, exec_lo, s21
	v_cmp_lt_u32_e32 vcc_lo, 7, v52
	v_cndmask_b32_e64 v11, 0, 1, vcc_lo
	;;#ASMSTART
	;;#ASMEND
	v_cmp_ne_u32_e64 s9, 0, v11
	s_delay_alu instid0(VALU_DEP_1)
	s_cmp_lg_u32 s9, exec_lo
	s_mov_b32 s9, -1
	s_cbranch_scc0 .LBB0_214
; %bb.199:                              ;   in Loop: Header=BB0_184 Depth=2
	s_mov_b32 s10, exec_lo
	flat_store_b8 v[14:15], v10
	v_cmpx_ne_u32_e32 1, v52
	s_cbranch_execz .LBB0_201
; %bb.200:                              ;   in Loop: Header=BB0_184 Depth=2
	flat_store_b8 v[14:15], v97 offset:1
.LBB0_201:                              ;   in Loop: Header=BB0_184 Depth=2
	s_or_b32 exec_lo, exec_lo, s10
	s_delay_alu instid0(SALU_CYCLE_1)
	s_mov_b32 s10, exec_lo
	v_cmpx_lt_u32_e32 2, v52
	s_cbranch_execz .LBB0_203
; %bb.202:                              ;   in Loop: Header=BB0_184 Depth=2
	flat_store_b8 v[14:15], v17 offset:2
.LBB0_203:                              ;   in Loop: Header=BB0_184 Depth=2
	s_or_b32 exec_lo, exec_lo, s10
	s_delay_alu instid0(SALU_CYCLE_1)
	s_mov_b32 s10, exec_lo
	v_cmpx_lt_u32_e32 3, v52
	;; [unrolled: 8-line block ×4, first 2 shown]
	s_cbranch_execz .LBB0_209
; %bb.208:                              ;   in Loop: Header=BB0_184 Depth=2
	v_lshrrev_b32_e32 v11, 8, v12
	flat_store_b8 v[14:15], v11 offset:5
.LBB0_209:                              ;   in Loop: Header=BB0_184 Depth=2
	s_or_b32 exec_lo, exec_lo, s10
	s_delay_alu instid0(SALU_CYCLE_1)
	s_mov_b32 s10, exec_lo
	v_cmpx_lt_u32_e32 6, v52
	s_cbranch_execz .LBB0_211
; %bb.210:                              ;   in Loop: Header=BB0_184 Depth=2
	flat_store_d16_hi_b8 v[14:15], v12 offset:6
.LBB0_211:                              ;   in Loop: Header=BB0_184 Depth=2
	s_or_b32 exec_lo, exec_lo, s10
	s_and_saveexec_b32 s9, vcc_lo
	s_cbranch_execz .LBB0_213
; %bb.212:                              ;   in Loop: Header=BB0_184 Depth=2
	v_lshrrev_b32_e32 v11, 24, v12
	flat_store_b8 v[14:15], v11 offset:7
.LBB0_213:                              ;   in Loop: Header=BB0_184 Depth=2
	s_or_b32 exec_lo, exec_lo, s9
	s_mov_b32 s9, 0
.LBB0_214:                              ;   in Loop: Header=BB0_184 Depth=2
	s_delay_alu instid0(SALU_CYCLE_1)
	s_and_b32 vcc_lo, exec_lo, s9
	s_cbranch_vccz .LBB0_183
; %bb.215:                              ;   in Loop: Header=BB0_184 Depth=2
	v_mov_b32_e32 v11, v12
	global_store_b64 v[14:15], v[10:11], off
	s_branch .LBB0_183
.LBB0_216:                              ;   in Loop: Header=BB0_70 Depth=1
	s_or_b32 exec_lo, exec_lo, s20
.LBB0_217:                              ;   in Loop: Header=BB0_70 Depth=1
	s_delay_alu instid0(SALU_CYCLE_1)
	s_or_b32 exec_lo, exec_lo, s19
	s_and_saveexec_b32 s9, s5
	s_cbranch_execz .LBB0_239
; %bb.218:                              ;   in Loop: Header=BB0_70 Depth=1
	s_and_saveexec_b32 s10, s6
	s_delay_alu instid0(SALU_CYCLE_1)
	s_xor_b32 s10, exec_lo, s10
	s_cbranch_execz .LBB0_236
; %bb.219:                              ;   in Loop: Header=BB0_70 Depth=1
	s_and_saveexec_b32 s19, s7
	s_cbranch_execz .LBB0_235
; %bb.220:                              ;   in Loop: Header=BB0_70 Depth=1
	s_mov_b32 s21, exec_lo
	s_mov_b32 s20, exec_lo
	v_mbcnt_lo_u32_b32 v10, s21, 0
	s_waitcnt vmcnt(0) lgkmcnt(0)
	s_waitcnt_vscnt null, 0x0
	buffer_gl1_inv
	buffer_gl0_inv
	v_cmpx_eq_u32_e32 0, v10
	s_cbranch_execz .LBB0_222
; %bb.221:                              ;   in Loop: Header=BB0_70 Depth=1
	s_bcnt1_i32_b32 s21, s21
	s_delay_alu instid0(SALU_CYCLE_1)
	v_mov_b32_e32 v52, s21
	ds_add_u64 v0, v[52:53]
	s_cbranch_execnz .LBB0_433
.LBB0_222:                              ;   in Loop: Header=BB0_70 Depth=1
	s_or_b32 exec_lo, exec_lo, s20
	s_cbranch_execnz .LBB0_421
; %bb.223:                              ;   in Loop: Header=BB0_70 Depth=1
	ds_load_b64 v[10:11], v0
	v_add_co_u32 v50, vcc_lo, v50, v99
	v_add_co_ci_u32_e32 v51, vcc_lo, v51, v101, vcc_lo
	s_mov_b32 s20, exec_lo
	s_waitcnt lgkmcnt(0)
	s_delay_alu instid0(VALU_DEP_1)
	v_cmpx_lt_u64_e64 v[10:11], v[50:51]
	s_cbranch_execz .LBB0_234
; %bb.224:                              ;   in Loop: Header=BB0_70 Depth=1
	s_mov_b32 s21, 0
	s_mov_b32 s24, 0
                                        ; implicit-def: $sgpr22
                                        ; implicit-def: $sgpr23
	s_branch .LBB0_226
.LBB0_225:                              ;   in Loop: Header=BB0_226 Depth=2
	s_or_b32 exec_lo, exec_lo, s27
	s_delay_alu instid0(SALU_CYCLE_1) | instskip(NEXT) | instid1(SALU_CYCLE_1)
	s_and_b32 s25, exec_lo, s26
	s_or_b32 s21, s25, s21
	s_and_not1_b32 s22, s22, exec_lo
	s_and_b32 s25, s23, exec_lo
	s_delay_alu instid0(SALU_CYCLE_1)
	s_or_b32 s22, s22, s25
	s_and_not1_b32 exec_lo, exec_lo, s21
	s_cbranch_execz .LBB0_232
.LBB0_226:                              ;   Parent Loop BB0_70 Depth=1
                                        ; =>  This Inner Loop Header: Depth=2
	s_add_i32 s24, s24, 1
                                        ; implicit-def: $sgpr26
	s_delay_alu instid0(SALU_CYCLE_1) | instskip(SKIP_1) | instid1(SALU_CYCLE_1)
	s_cmpk_lg_i32 s24, 0x2710
	s_cselect_b32 s25, -1, 0
	s_and_b32 vcc_lo, exec_lo, s25
	s_cbranch_vccz .LBB0_230
.LBB0_227:                              ;   in Loop: Header=BB0_226 Depth=2
	s_and_not1_b32 s23, s23, exec_lo
	s_and_b32 s27, s26, exec_lo
	s_mov_b32 s26, -1
	s_or_b32 s23, s23, s27
	s_and_saveexec_b32 s27, s25
	s_cbranch_execz .LBB0_225
; %bb.228:                              ;   in Loop: Header=BB0_226 Depth=2
	s_sleep 1
	s_cbranch_execnz .LBB0_449
; %bb.229:                              ;   in Loop: Header=BB0_226 Depth=2
	ds_load_b64 v[10:11], v0
	s_and_not1_b32 s23, s23, exec_lo
	s_waitcnt lgkmcnt(0)
	v_cmp_ge_u64_e32 vcc_lo, v[10:11], v[50:51]
	s_or_not1_b32 s26, vcc_lo, exec_lo
	s_branch .LBB0_225
.LBB0_230:                              ;   in Loop: Header=BB0_226 Depth=2
	s_cbranch_execnz .LBB0_453
; %bb.231:                              ;   in Loop: Header=BB0_226 Depth=2
	ds_load_b64 v[10:11], v0
	s_and_not1_b32 s25, s25, exec_lo
	s_mov_b32 s24, 0
	s_mov_b32 s26, -1
	s_waitcnt lgkmcnt(0)
	flat_load_b32 v10, v[10:11] glc
	s_waitcnt vmcnt(0) lgkmcnt(0)
	buffer_gl1_inv
	buffer_gl0_inv
	v_cmp_eq_u32_e32 vcc_lo, 0, v10
	s_and_b32 s27, vcc_lo, exec_lo
	s_delay_alu instid0(SALU_CYCLE_1)
	s_or_b32 s25, s25, s27
	s_branch .LBB0_227
.LBB0_232:                              ;   in Loop: Header=BB0_70 Depth=1
	s_or_b32 exec_lo, exec_lo, s21
	s_and_saveexec_b32 s21, s22
	s_delay_alu instid0(SALU_CYCLE_1)
	s_xor_b32 s21, exec_lo, s21
	s_cbranch_execz .LBB0_234
; %bb.233:                              ;   in Loop: Header=BB0_70 Depth=1
	ds_store_b32 v0, v118
	s_cbranch_execnz .LBB0_473
.LBB0_234:                              ;   in Loop: Header=BB0_70 Depth=1
	s_or_b32 exec_lo, exec_lo, s20
	;;#ASMSTART
	s_wakeup
	;;#ASMEND
.LBB0_235:                              ;   in Loop: Header=BB0_70 Depth=1
	s_or_b32 exec_lo, exec_lo, s19
.LBB0_236:                              ;   in Loop: Header=BB0_70 Depth=1
	s_and_not1_saveexec_b32 s10, s10
	s_cbranch_execz .LBB0_238
; %bb.237:                              ;   in Loop: Header=BB0_70 Depth=1
	s_waitcnt vmcnt(0) lgkmcnt(0)
	s_waitcnt_vscnt null, 0x0
	buffer_gl1_inv
	buffer_gl0_inv
	s_barrier
.LBB0_238:                              ;   in Loop: Header=BB0_70 Depth=1
	s_or_b32 exec_lo, exec_lo, s10
.LBB0_239:                              ;   in Loop: Header=BB0_70 Depth=1
	s_delay_alu instid0(SALU_CYCLE_1)
	s_or_b32 exec_lo, exec_lo, s9
	s_and_saveexec_b32 s9, s8
	s_cbranch_execz .LBB0_241
; %bb.240:                              ;   in Loop: Header=BB0_70 Depth=1
	v_add_co_u32 v36, vcc_lo, v36, 1
	v_add_co_ci_u32_e32 v37, vcc_lo, 0, v37, vcc_lo
	s_waitcnt vmcnt(0) lgkmcnt(0)
	s_waitcnt_vscnt null, 0x0
	flat_store_b64 v[28:29], v[36:37]
.LBB0_241:                              ;   in Loop: Header=BB0_70 Depth=1
	s_or_b32 exec_lo, exec_lo, s9
	v_add_co_u32 v24, vcc_lo, v24, 1
	v_add_co_ci_u32_e32 v25, vcc_lo, 0, v25, vcc_lo
.LBB0_242:                              ;   in Loop: Header=BB0_70 Depth=1
	s_or_b32 exec_lo, exec_lo, s18
                                        ; implicit-def: $vgpr12
.LBB0_243:                              ;   in Loop: Header=BB0_70 Depth=1
	s_and_not1_saveexec_b32 s17, s17
	s_cbranch_execz .LBB0_69
; %bb.244:                              ;   in Loop: Header=BB0_70 Depth=1
	v_add_nc_u32_e32 v10, 7, v12
	s_delay_alu instid0(VALU_DEP_1) | instskip(NEXT) | instid1(VALU_DEP_1)
	v_ashrrev_i32_e32 v11, 31, v10
	v_lshrrev_b32_e32 v11, 29, v11
	s_delay_alu instid0(VALU_DEP_1) | instskip(NEXT) | instid1(VALU_DEP_1)
	v_add_nc_u32_e32 v10, v10, v11
	v_ashrrev_i32_e32 v13, 3, v10
	s_and_saveexec_b32 s9, s16
	s_delay_alu instid0(SALU_CYCLE_1)
	s_xor_b32 s18, exec_lo, s9
	s_cbranch_execz .LBB0_315
; %bb.245:                              ;   in Loop: Header=BB0_70 Depth=1
	s_and_saveexec_b32 s9, s3
	s_cbranch_execz .LBB0_263
; %bb.246:                              ;   in Loop: Header=BB0_70 Depth=1
	v_add_co_u32 v10, vcc_lo, v8, 1
	v_add_co_ci_u32_e32 v11, vcc_lo, 0, v9, vcc_lo
	s_waitcnt vmcnt(0) lgkmcnt(0)
	v_add_co_u32 v14, vcc_lo, v48, 8
	v_add_co_ci_u32_e32 v15, vcc_lo, 0, v49, vcc_lo
	s_mov_b32 s10, exec_lo
	s_delay_alu instid0(VALU_DEP_1)
	v_cmpx_lt_u64_e64 v[14:15], v[10:11]
	s_cbranch_execz .LBB0_260
; %bb.247:                              ;   in Loop: Header=BB0_70 Depth=1
	s_sleep 1
	flat_load_b64 v[48:49], v[38:39] glc
	v_cmp_eq_u32_e32 vcc_lo, 0, v119
	s_and_saveexec_b32 s19, vcc_lo
	s_cbranch_execz .LBB0_259
; %bb.248:                              ;   in Loop: Header=BB0_70 Depth=1
	v_cndmask_b32_e64 v9, 0, 1, vcc_lo
	s_mov_b32 s20, 0
                                        ; implicit-def: $sgpr21
	s_branch .LBB0_252
.LBB0_249:                              ;   in Loop: Header=BB0_252 Depth=2
	s_or_b32 exec_lo, exec_lo, s24
	s_delay_alu instid0(SALU_CYCLE_1)
	s_or_not1_b32 s24, s25, exec_lo
.LBB0_250:                              ;   in Loop: Header=BB0_252 Depth=2
	s_or_b32 exec_lo, exec_lo, s23
	s_xor_b32 s23, s24, -1
	s_and_not1_b32 s21, s21, exec_lo
	s_and_b32 s23, s23, exec_lo
	s_delay_alu instid0(SALU_CYCLE_1)
	s_or_b32 s21, s21, s23
.LBB0_251:                              ;   in Loop: Header=BB0_252 Depth=2
	s_or_b32 exec_lo, exec_lo, s22
	s_delay_alu instid0(SALU_CYCLE_1) | instskip(NEXT) | instid1(SALU_CYCLE_1)
	s_and_b32 s22, exec_lo, s21
	s_or_b32 s20, s22, s20
	s_delay_alu instid0(SALU_CYCLE_1)
	s_and_not1_b32 exec_lo, exec_lo, s20
	s_cbranch_execz .LBB0_258
.LBB0_252:                              ;   Parent Loop BB0_70 Depth=1
                                        ; =>  This Inner Loop Header: Depth=2
	s_waitcnt vmcnt(0) lgkmcnt(0)
	v_add_co_u32 v14, vcc_lo, v48, 8
	v_add_co_ci_u32_e32 v15, vcc_lo, 0, v49, vcc_lo
	v_mov_b32_e32 v119, 0
	s_or_b32 s21, s21, exec_lo
	s_mov_b32 s22, exec_lo
	s_delay_alu instid0(VALU_DEP_2)
	v_cmpx_lt_u64_e64 v[14:15], v[10:11]
	s_cbranch_execz .LBB0_251
; %bb.253:                              ;   in Loop: Header=BB0_252 Depth=2
	s_sleep 1
	flat_load_b64 v[48:49], v[38:39] glc
	v_add_nc_u32_e32 v9, 1, v9
	v_mov_b32_e32 v119, 0
	s_mov_b32 s24, -1
	s_mov_b32 s23, exec_lo
	s_delay_alu instid0(VALU_DEP_2)
	v_cmpx_eq_u32_e32 0x2710, v9
	s_cbranch_execz .LBB0_250
; %bb.254:                              ;   in Loop: Header=BB0_252 Depth=2
	s_cbranch_execnz .LBB0_390
; %bb.255:                              ;   in Loop: Header=BB0_252 Depth=2
	ds_load_b64 v[14:15], v0
	v_mov_b32_e32 v9, 0
	v_mov_b32_e32 v119, 0
	s_mov_b32 s25, -1
	s_mov_b32 s24, exec_lo
	s_waitcnt vmcnt(0) lgkmcnt(0)
	s_waitcnt_vscnt null, 0x0
	flat_load_b32 v14, v[14:15] glc
	s_waitcnt vmcnt(0) lgkmcnt(0)
	buffer_gl1_inv
	buffer_gl0_inv
	v_cmpx_ne_u32_e32 0, v14
	s_cbranch_execz .LBB0_249
; %bb.256:                              ;   in Loop: Header=BB0_252 Depth=2
	ds_store_b32 v0, v14
	s_cbranch_execnz .LBB0_425
; %bb.257:                              ;   in Loop: Header=BB0_252 Depth=2
	v_mov_b32_e32 v119, 1
	s_xor_b32 s25, exec_lo, -1
	s_branch .LBB0_249
.LBB0_258:                              ;   in Loop: Header=BB0_70 Depth=1
	s_or_b32 exec_lo, exec_lo, s20
.LBB0_259:                              ;   in Loop: Header=BB0_70 Depth=1
	s_delay_alu instid0(SALU_CYCLE_1)
	s_or_b32 exec_lo, exec_lo, s19
.LBB0_260:                              ;   in Loop: Header=BB0_70 Depth=1
	s_delay_alu instid0(SALU_CYCLE_1)
	s_or_b32 exec_lo, exec_lo, s10
	s_and_saveexec_b32 s10, s4
	s_cbranch_execz .LBB0_262
; %bb.261:                              ;   in Loop: Header=BB0_70 Depth=1
	v_and_b32_e32 v52, 0x7ffffff8, v8
	v_and_b32_e32 v15, 7, v8
	s_delay_alu instid0(VALU_DEP_2) | instskip(SKIP_1) | instid1(VALU_DEP_3)
	v_cmp_eq_u64_e32 vcc_lo, 0x7ffffff8, v[52:53]
	v_cndmask_b32_e64 v9, v13, s14, vcc_lo
	v_mad_u64_u32 v[13:14], null, v15, 24, v[6:7]
	s_delay_alu instid0(VALU_DEP_2) | instskip(NEXT) | instid1(VALU_DEP_1)
	v_lshlrev_b32_e32 v8, 4, v9
	v_ashrrev_i32_e32 v9, 31, v8
	flat_store_b64 v[13:14], v[8:9] offset:8 dlc
	s_waitcnt_vscnt null, 0x0
.LBB0_262:                              ;   in Loop: Header=BB0_70 Depth=1
	s_or_b32 exec_lo, exec_lo, s10
	v_dual_mov_b32 v8, v10 :: v_dual_mov_b32 v9, v11
.LBB0_263:                              ;   in Loop: Header=BB0_70 Depth=1
	s_or_b32 exec_lo, exec_lo, s9
	s_and_saveexec_b32 s9, s5
	s_cbranch_execz .LBB0_285
; %bb.264:                              ;   in Loop: Header=BB0_70 Depth=1
	s_and_saveexec_b32 s10, s6
	s_delay_alu instid0(SALU_CYCLE_1)
	s_xor_b32 s10, exec_lo, s10
	s_cbranch_execz .LBB0_282
; %bb.265:                              ;   in Loop: Header=BB0_70 Depth=1
	s_and_saveexec_b32 s19, s7
	s_cbranch_execz .LBB0_281
; %bb.266:                              ;   in Loop: Header=BB0_70 Depth=1
	s_mov_b32 s21, exec_lo
	s_mov_b32 s20, exec_lo
	v_mbcnt_lo_u32_b32 v10, s21, 0
	s_waitcnt vmcnt(0) lgkmcnt(0)
	s_waitcnt_vscnt null, 0x0
	buffer_gl1_inv
	buffer_gl0_inv
	v_cmpx_eq_u32_e32 0, v10
	s_cbranch_execz .LBB0_268
; %bb.267:                              ;   in Loop: Header=BB0_70 Depth=1
	s_bcnt1_i32_b32 s21, s21
	s_delay_alu instid0(SALU_CYCLE_1)
	v_mov_b32_e32 v52, s21
	ds_add_u64 v0, v[52:53]
	s_cbranch_execnz .LBB0_415
.LBB0_268:                              ;   in Loop: Header=BB0_70 Depth=1
	s_or_b32 exec_lo, exec_lo, s20
	s_cbranch_execnz .LBB0_407
; %bb.269:                              ;   in Loop: Header=BB0_70 Depth=1
	ds_load_b64 v[10:11], v0
	v_add_co_u32 v50, vcc_lo, v50, v99
	v_add_co_ci_u32_e32 v51, vcc_lo, v51, v101, vcc_lo
	s_mov_b32 s20, exec_lo
	s_waitcnt lgkmcnt(0)
	s_delay_alu instid0(VALU_DEP_1)
	v_cmpx_lt_u64_e64 v[10:11], v[50:51]
	s_cbranch_execz .LBB0_280
; %bb.270:                              ;   in Loop: Header=BB0_70 Depth=1
	s_mov_b32 s21, 0
	s_mov_b32 s24, 0
                                        ; implicit-def: $sgpr22
                                        ; implicit-def: $sgpr23
	s_branch .LBB0_272
.LBB0_271:                              ;   in Loop: Header=BB0_272 Depth=2
	s_or_b32 exec_lo, exec_lo, s27
	s_delay_alu instid0(SALU_CYCLE_1) | instskip(NEXT) | instid1(SALU_CYCLE_1)
	s_and_b32 s25, exec_lo, s26
	s_or_b32 s21, s25, s21
	s_and_not1_b32 s22, s22, exec_lo
	s_and_b32 s25, s23, exec_lo
	s_delay_alu instid0(SALU_CYCLE_1)
	s_or_b32 s22, s22, s25
	s_and_not1_b32 exec_lo, exec_lo, s21
	s_cbranch_execz .LBB0_278
.LBB0_272:                              ;   Parent Loop BB0_70 Depth=1
                                        ; =>  This Inner Loop Header: Depth=2
	s_add_i32 s24, s24, 1
                                        ; implicit-def: $sgpr26
	s_delay_alu instid0(SALU_CYCLE_1) | instskip(SKIP_1) | instid1(SALU_CYCLE_1)
	s_cmpk_lg_i32 s24, 0x2710
	s_cselect_b32 s25, -1, 0
	s_and_b32 vcc_lo, exec_lo, s25
	s_cbranch_vccz .LBB0_276
.LBB0_273:                              ;   in Loop: Header=BB0_272 Depth=2
	s_and_not1_b32 s23, s23, exec_lo
	s_and_b32 s27, s26, exec_lo
	s_mov_b32 s26, -1
	s_or_b32 s23, s23, s27
	s_and_saveexec_b32 s27, s25
	s_cbranch_execz .LBB0_271
; %bb.274:                              ;   in Loop: Header=BB0_272 Depth=2
	s_sleep 1
	s_cbranch_execnz .LBB0_439
; %bb.275:                              ;   in Loop: Header=BB0_272 Depth=2
	ds_load_b64 v[10:11], v0
	s_and_not1_b32 s23, s23, exec_lo
	s_waitcnt lgkmcnt(0)
	v_cmp_ge_u64_e32 vcc_lo, v[10:11], v[50:51]
	s_or_not1_b32 s26, vcc_lo, exec_lo
	s_branch .LBB0_271
.LBB0_276:                              ;   in Loop: Header=BB0_272 Depth=2
	s_cbranch_execnz .LBB0_443
; %bb.277:                              ;   in Loop: Header=BB0_272 Depth=2
	ds_load_b64 v[10:11], v0
	s_and_not1_b32 s25, s25, exec_lo
	s_mov_b32 s24, 0
	s_mov_b32 s26, -1
	s_waitcnt lgkmcnt(0)
	flat_load_b32 v10, v[10:11] glc
	s_waitcnt vmcnt(0) lgkmcnt(0)
	buffer_gl1_inv
	buffer_gl0_inv
	v_cmp_eq_u32_e32 vcc_lo, 0, v10
	s_and_b32 s27, vcc_lo, exec_lo
	s_delay_alu instid0(SALU_CYCLE_1)
	s_or_b32 s25, s25, s27
	s_branch .LBB0_273
.LBB0_278:                              ;   in Loop: Header=BB0_70 Depth=1
	s_or_b32 exec_lo, exec_lo, s21
	s_and_saveexec_b32 s21, s22
	s_delay_alu instid0(SALU_CYCLE_1)
	s_xor_b32 s21, exec_lo, s21
	s_cbranch_execz .LBB0_280
; %bb.279:                              ;   in Loop: Header=BB0_70 Depth=1
	ds_store_b32 v0, v118
	s_cbranch_execnz .LBB0_467
.LBB0_280:                              ;   in Loop: Header=BB0_70 Depth=1
	s_or_b32 exec_lo, exec_lo, s20
	;;#ASMSTART
	s_wakeup
	;;#ASMEND
.LBB0_281:                              ;   in Loop: Header=BB0_70 Depth=1
	s_or_b32 exec_lo, exec_lo, s19
.LBB0_282:                              ;   in Loop: Header=BB0_70 Depth=1
	s_and_not1_saveexec_b32 s10, s10
	s_cbranch_execz .LBB0_284
; %bb.283:                              ;   in Loop: Header=BB0_70 Depth=1
	s_waitcnt vmcnt(0) lgkmcnt(0)
	s_waitcnt_vscnt null, 0x0
	buffer_gl1_inv
	buffer_gl0_inv
	s_barrier
.LBB0_284:                              ;   in Loop: Header=BB0_70 Depth=1
	s_or_b32 exec_lo, exec_lo, s10
.LBB0_285:                              ;   in Loop: Header=BB0_70 Depth=1
	s_delay_alu instid0(SALU_CYCLE_1) | instskip(SKIP_3) | instid1(VALU_DEP_2)
	s_or_b32 exec_lo, exec_lo, s9
	v_sub_nc_u32_e32 v17, v12, v100
	v_mov_b32_e32 v14, v0
	s_mov_b32 s19, exec_lo
	v_cmpx_lt_i32_e32 0, v17
	s_cbranch_execz .LBB0_311
; %bb.286:                              ;   in Loop: Header=BB0_70 Depth=1
	v_dual_mov_b32 v15, v70 :: v_dual_and_b32 v10, 7, v34
	v_dual_mov_b32 v14, v34 :: v_dual_mov_b32 v83, v65
	v_add_co_u32 v96, vcc_lo, 0, 0
	s_delay_alu instid0(VALU_DEP_3) | instskip(SKIP_4) | instid1(VALU_DEP_4)
	v_mul_lo_u32 v10, v10, s14
	v_mov_b32_e32 v16, v71
	v_mov_b32_e32 v52, v3
	;; [unrolled: 1-line block ×3, first 2 shown]
	s_mov_b32 s20, 0
	v_ashrrev_i32_e32 v11, 31, v10
	s_delay_alu instid0(VALU_DEP_1) | instskip(SKIP_2) | instid1(VALU_DEP_3)
	v_lshlrev_b64 v[12:13], 4, v[10:11]
	v_add_co_ci_u32_e32 v11, vcc_lo, 1, v14, vcc_lo
	v_mov_b32_e32 v14, v0
	v_add_co_u32 v84, vcc_lo, v1, v12
	s_delay_alu instid0(VALU_DEP_4)
	v_add_co_ci_u32_e32 v85, vcc_lo, v117, v13, vcc_lo
	s_branch .LBB0_288
.LBB0_287:                              ;   in Loop: Header=BB0_288 Depth=2
	v_add_co_u32 v82, vcc_lo, v82, v102
	v_sub_nc_u32_e32 v17, v17, v102
	v_add_co_ci_u32_e32 v83, vcc_lo, v83, v114, vcc_lo
	v_add_co_u32 v15, vcc_lo, v15, v102
	v_add_co_ci_u32_e32 v16, vcc_lo, v16, v114, vcc_lo
	s_delay_alu instid0(VALU_DEP_4)
	v_cmp_gt_i32_e32 vcc_lo, 1, v17
	v_add_co_u32 v84, s9, v84, v68
	v_add_nc_u32_e32 v14, v14, v2
	v_add_nc_u32_e32 v52, v52, v116
	v_add_co_ci_u32_e64 v85, s9, v85, v69, s9
	s_or_b32 s20, vcc_lo, s20
	s_delay_alu instid0(SALU_CYCLE_1)
	s_and_not1_b32 exec_lo, exec_lo, s20
	s_cbranch_execz .LBB0_310
.LBB0_288:                              ;   Parent Loop BB0_70 Depth=1
                                        ; =>  This Inner Loop Header: Depth=2
	v_add_co_u32 v86, vcc_lo, v100, v82
	v_add_co_ci_u32_e32 v13, vcc_lo, v103, v83, vcc_lo
	v_min_u32_e32 v87, 8, v17
	s_delay_alu instid0(VALU_DEP_3) | instskip(SKIP_4) | instid1(VALU_DEP_1)
	v_dual_mov_b32 v97, 0 :: v_dual_and_b32 v12, -4, v86
	v_and_b32_e32 v86, 3, v86
	v_mov_b32_e32 v128, 0
	flat_load_b32 v10, v[12:13] glc
	v_add_co_u32 v86, s9, v86, v87
	v_add_co_ci_u32_e64 v87, null, 0, 0, s9
	s_mov_b32 s9, exec_lo
	s_delay_alu instid0(VALU_DEP_1)
	v_cmpx_lt_u64_e32 4, v[86:87]
	s_cbranch_execz .LBB0_290
; %bb.289:                              ;   in Loop: Header=BB0_288 Depth=2
	flat_load_b32 v128, v[12:13] offset:4 glc
.LBB0_290:                              ;   in Loop: Header=BB0_288 Depth=2
	s_or_b32 exec_lo, exec_lo, s9
	s_delay_alu instid0(SALU_CYCLE_1)
	s_mov_b32 s9, exec_lo
	v_cmpx_lt_u64_e32 8, v[86:87]
	s_cbranch_execz .LBB0_292
; %bb.291:                              ;   in Loop: Header=BB0_288 Depth=2
	flat_load_b32 v97, v[12:13] offset:8 glc
.LBB0_292:                              ;   in Loop: Header=BB0_288 Depth=2
	s_or_b32 exec_lo, exec_lo, s9
	s_waitcnt vmcnt(0) lgkmcnt(0)
	v_alignbit_b32 v86, v128, v10, v52
	v_alignbit_b32 v87, v97, v128, v52
	v_cmp_lt_u32_e32 vcc_lo, 7, v17
	v_mov_b32_e32 v13, v11
	s_delay_alu instid0(VALU_DEP_4) | instskip(NEXT) | instid1(VALU_DEP_4)
	v_or_b32_e32 v10, v96, v86
	v_or_b32_e32 v12, v96, v87
	v_cndmask_b32_e64 v97, 0, 1, vcc_lo
	global_store_b128 v[84:85], v[10:13], off
	;;#ASMSTART
	;;#ASMEND
	v_cmp_ne_u32_e64 s9, 0, v97
	v_add_co_u32 v12, s10, v15, v100
	s_delay_alu instid0(VALU_DEP_1) | instskip(NEXT) | instid1(VALU_DEP_3)
	v_add_co_ci_u32_e64 v13, s10, v16, v103, s10
	s_cmp_lg_u32 s9, exec_lo
	s_mov_b32 s9, -1
	s_cbranch_scc0 .LBB0_308
; %bb.293:                              ;   in Loop: Header=BB0_288 Depth=2
	s_mov_b32 s10, exec_lo
	flat_store_b8 v[12:13], v86
	v_cmpx_ne_u32_e32 1, v17
	s_cbranch_execz .LBB0_295
; %bb.294:                              ;   in Loop: Header=BB0_288 Depth=2
	v_lshrrev_b32_e32 v10, 8, v86
	flat_store_b8 v[12:13], v10 offset:1
.LBB0_295:                              ;   in Loop: Header=BB0_288 Depth=2
	s_or_b32 exec_lo, exec_lo, s10
	s_delay_alu instid0(SALU_CYCLE_1)
	s_mov_b32 s10, exec_lo
	v_cmpx_lt_u32_e32 2, v17
	s_cbranch_execz .LBB0_297
; %bb.296:                              ;   in Loop: Header=BB0_288 Depth=2
	flat_store_d16_hi_b8 v[12:13], v86 offset:2
.LBB0_297:                              ;   in Loop: Header=BB0_288 Depth=2
	s_or_b32 exec_lo, exec_lo, s10
	s_delay_alu instid0(SALU_CYCLE_1)
	s_mov_b32 s10, exec_lo
	v_cmpx_lt_u32_e32 3, v17
	s_cbranch_execz .LBB0_299
; %bb.298:                              ;   in Loop: Header=BB0_288 Depth=2
	v_lshrrev_b32_e32 v10, 24, v86
	flat_store_b8 v[12:13], v10 offset:3
.LBB0_299:                              ;   in Loop: Header=BB0_288 Depth=2
	s_or_b32 exec_lo, exec_lo, s10
	s_delay_alu instid0(SALU_CYCLE_1)
	s_mov_b32 s10, exec_lo
	v_cmpx_lt_u32_e32 4, v17
	s_cbranch_execz .LBB0_301
; %bb.300:                              ;   in Loop: Header=BB0_288 Depth=2
	flat_store_b8 v[12:13], v87 offset:4
.LBB0_301:                              ;   in Loop: Header=BB0_288 Depth=2
	s_or_b32 exec_lo, exec_lo, s10
	s_delay_alu instid0(SALU_CYCLE_1)
	s_mov_b32 s10, exec_lo
	v_cmpx_lt_u32_e32 5, v17
	s_cbranch_execz .LBB0_303
; %bb.302:                              ;   in Loop: Header=BB0_288 Depth=2
	v_lshrrev_b32_e32 v10, 8, v87
	flat_store_b8 v[12:13], v10 offset:5
.LBB0_303:                              ;   in Loop: Header=BB0_288 Depth=2
	s_or_b32 exec_lo, exec_lo, s10
	s_delay_alu instid0(SALU_CYCLE_1)
	s_mov_b32 s10, exec_lo
	v_cmpx_lt_u32_e32 6, v17
	s_cbranch_execz .LBB0_305
; %bb.304:                              ;   in Loop: Header=BB0_288 Depth=2
	flat_store_d16_hi_b8 v[12:13], v87 offset:6
.LBB0_305:                              ;   in Loop: Header=BB0_288 Depth=2
	s_or_b32 exec_lo, exec_lo, s10
	s_and_saveexec_b32 s9, vcc_lo
	s_cbranch_execz .LBB0_307
; %bb.306:                              ;   in Loop: Header=BB0_288 Depth=2
	v_lshrrev_b32_e32 v10, 24, v87
	flat_store_b8 v[12:13], v10 offset:7
.LBB0_307:                              ;   in Loop: Header=BB0_288 Depth=2
	s_or_b32 exec_lo, exec_lo, s9
	s_mov_b32 s9, 0
.LBB0_308:                              ;   in Loop: Header=BB0_288 Depth=2
	s_delay_alu instid0(SALU_CYCLE_1)
	s_and_b32 vcc_lo, exec_lo, s9
	s_cbranch_vccz .LBB0_287
; %bb.309:                              ;   in Loop: Header=BB0_288 Depth=2
	global_store_b64 v[12:13], v[86:87], off
	s_branch .LBB0_287
.LBB0_310:                              ;   in Loop: Header=BB0_70 Depth=1
	s_or_b32 exec_lo, exec_lo, s20
.LBB0_311:                              ;   in Loop: Header=BB0_70 Depth=1
	s_delay_alu instid0(SALU_CYCLE_1) | instskip(SKIP_2) | instid1(VALU_DEP_2)
	s_or_b32 exec_lo, exec_lo, s19
	v_and_b32_e32 v52, 0x7ffffff8, v34
	v_cmp_gt_i32_e64 s9, s14, v14
	v_cmp_eq_u64_e32 vcc_lo, 0x7ffffff8, v[52:53]
	s_delay_alu instid0(VALU_DEP_2) | instskip(NEXT) | instid1(SALU_CYCLE_1)
	s_and_b32 s9, vcc_lo, s9
	s_and_saveexec_b32 s10, s9
	s_cbranch_execz .LBB0_314
; %bb.312:                              ;   in Loop: Header=BB0_70 Depth=1
	v_and_b32_e32 v10, 7, v34
	v_ashrrev_i32_e32 v15, 31, v14
	s_mov_b32 s19, 0
	s_delay_alu instid0(VALU_DEP_1) | instskip(SKIP_2) | instid1(VALU_DEP_1)
	v_lshlrev_b64 v[12:13], 4, v[14:15]
	v_mov_b32_e32 v15, v34
	v_mul_lo_u32 v10, v10, s14
	v_ashrrev_i32_e32 v11, 31, v10
	s_delay_alu instid0(VALU_DEP_1) | instskip(NEXT) | instid1(VALU_DEP_1)
	v_lshlrev_b64 v[10:11], 4, v[10:11]
	v_add_co_u32 v12, vcc_lo, v12, v10
	s_delay_alu instid0(VALU_DEP_2) | instskip(SKIP_2) | instid1(VALU_DEP_4)
	v_add_co_ci_u32_e32 v13, vcc_lo, v13, v11, vcc_lo
	v_add_co_u32 v10, vcc_lo, 0, 0
	v_add_co_ci_u32_e32 v11, vcc_lo, 1, v15, vcc_lo
	v_add_co_u32 v15, vcc_lo, v32, v12
	s_delay_alu instid0(VALU_DEP_4)
	v_add_co_ci_u32_e32 v16, vcc_lo, v33, v13, vcc_lo
.LBB0_313:                              ;   Parent Loop BB0_70 Depth=1
                                        ; =>  This Inner Loop Header: Depth=2
	s_delay_alu instid0(VALU_DEP_3) | instskip(SKIP_4) | instid1(VALU_DEP_1)
	v_dual_mov_b32 v12, v10 :: v_dual_mov_b32 v13, v11
	v_add_nc_u32_e32 v14, v14, v2
	global_store_b128 v[15:16], v[10:13], off
	v_cmp_le_i32_e32 vcc_lo, s14, v14
	v_add_co_u32 v15, s9, v15, v68
	v_add_co_ci_u32_e64 v16, s9, v16, v69, s9
	s_or_b32 s19, vcc_lo, s19
	s_delay_alu instid0(SALU_CYCLE_1)
	s_and_not1_b32 exec_lo, exec_lo, s19
	s_cbranch_execnz .LBB0_313
.LBB0_314:                              ;   in Loop: Header=BB0_70 Depth=1
	s_or_b32 exec_lo, exec_lo, s10
	v_add_co_u32 v34, vcc_lo, v34, 1
	v_add_co_ci_u32_e32 v35, vcc_lo, 0, v35, vcc_lo
                                        ; implicit-def: $vgpr13
                                        ; implicit-def: $vgpr12
.LBB0_315:                              ;   in Loop: Header=BB0_70 Depth=1
	s_and_not1_saveexec_b32 s10, s18
	s_cbranch_execz .LBB0_68
; %bb.316:                              ;   in Loop: Header=BB0_70 Depth=1
	s_and_saveexec_b32 s9, s3
	s_cbranch_execz .LBB0_334
; %bb.317:                              ;   in Loop: Header=BB0_70 Depth=1
	v_add_co_u32 v10, vcc_lo, v8, 1
	v_add_co_ci_u32_e32 v11, vcc_lo, 0, v9, vcc_lo
	s_waitcnt vmcnt(0) lgkmcnt(0)
	v_add_co_u32 v14, vcc_lo, v48, 8
	v_add_co_ci_u32_e32 v15, vcc_lo, 0, v49, vcc_lo
	s_mov_b32 s18, exec_lo
	s_delay_alu instid0(VALU_DEP_1)
	v_cmpx_lt_u64_e64 v[14:15], v[10:11]
	s_cbranch_execz .LBB0_331
; %bb.318:                              ;   in Loop: Header=BB0_70 Depth=1
	s_sleep 1
	flat_load_b64 v[48:49], v[38:39] glc
	v_cmp_eq_u32_e32 vcc_lo, 0, v119
	s_and_saveexec_b32 s19, vcc_lo
	s_cbranch_execz .LBB0_330
; %bb.319:                              ;   in Loop: Header=BB0_70 Depth=1
	v_cndmask_b32_e64 v9, 0, 1, vcc_lo
	s_mov_b32 s20, 0
                                        ; implicit-def: $sgpr21
	s_branch .LBB0_323
.LBB0_320:                              ;   in Loop: Header=BB0_323 Depth=2
	s_or_b32 exec_lo, exec_lo, s24
	s_delay_alu instid0(SALU_CYCLE_1)
	s_or_not1_b32 s24, s25, exec_lo
.LBB0_321:                              ;   in Loop: Header=BB0_323 Depth=2
	s_or_b32 exec_lo, exec_lo, s23
	s_xor_b32 s23, s24, -1
	s_and_not1_b32 s21, s21, exec_lo
	s_and_b32 s23, s23, exec_lo
	s_delay_alu instid0(SALU_CYCLE_1)
	s_or_b32 s21, s21, s23
.LBB0_322:                              ;   in Loop: Header=BB0_323 Depth=2
	s_or_b32 exec_lo, exec_lo, s22
	s_delay_alu instid0(SALU_CYCLE_1) | instskip(NEXT) | instid1(SALU_CYCLE_1)
	s_and_b32 s22, exec_lo, s21
	s_or_b32 s20, s22, s20
	s_delay_alu instid0(SALU_CYCLE_1)
	s_and_not1_b32 exec_lo, exec_lo, s20
	s_cbranch_execz .LBB0_329
.LBB0_323:                              ;   Parent Loop BB0_70 Depth=1
                                        ; =>  This Inner Loop Header: Depth=2
	s_waitcnt vmcnt(0) lgkmcnt(0)
	v_add_co_u32 v14, vcc_lo, v48, 8
	v_add_co_ci_u32_e32 v15, vcc_lo, 0, v49, vcc_lo
	v_mov_b32_e32 v119, 0
	s_or_b32 s21, s21, exec_lo
	s_mov_b32 s22, exec_lo
	s_delay_alu instid0(VALU_DEP_2)
	v_cmpx_lt_u64_e64 v[14:15], v[10:11]
	s_cbranch_execz .LBB0_322
; %bb.324:                              ;   in Loop: Header=BB0_323 Depth=2
	s_sleep 1
	flat_load_b64 v[48:49], v[38:39] glc
	v_add_nc_u32_e32 v9, 1, v9
	v_mov_b32_e32 v119, 0
	s_mov_b32 s24, -1
	s_mov_b32 s23, exec_lo
	s_delay_alu instid0(VALU_DEP_2)
	v_cmpx_eq_u32_e32 0x2710, v9
	s_cbranch_execz .LBB0_321
; %bb.325:                              ;   in Loop: Header=BB0_323 Depth=2
	s_cbranch_execnz .LBB0_394
; %bb.326:                              ;   in Loop: Header=BB0_323 Depth=2
	ds_load_b64 v[14:15], v0
	v_mov_b32_e32 v9, 0
	v_mov_b32_e32 v119, 0
	s_mov_b32 s25, -1
	s_mov_b32 s24, exec_lo
	s_waitcnt vmcnt(0) lgkmcnt(0)
	s_waitcnt_vscnt null, 0x0
	flat_load_b32 v14, v[14:15] glc
	s_waitcnt vmcnt(0) lgkmcnt(0)
	buffer_gl1_inv
	buffer_gl0_inv
	v_cmpx_ne_u32_e32 0, v14
	s_cbranch_execz .LBB0_320
; %bb.327:                              ;   in Loop: Header=BB0_323 Depth=2
	ds_store_b32 v0, v14
	s_cbranch_execnz .LBB0_427
; %bb.328:                              ;   in Loop: Header=BB0_323 Depth=2
	v_mov_b32_e32 v119, 1
	s_xor_b32 s25, exec_lo, -1
	s_branch .LBB0_320
.LBB0_329:                              ;   in Loop: Header=BB0_70 Depth=1
	s_or_b32 exec_lo, exec_lo, s20
.LBB0_330:                              ;   in Loop: Header=BB0_70 Depth=1
	s_delay_alu instid0(SALU_CYCLE_1)
	s_or_b32 exec_lo, exec_lo, s19
.LBB0_331:                              ;   in Loop: Header=BB0_70 Depth=1
	s_delay_alu instid0(SALU_CYCLE_1)
	s_or_b32 exec_lo, exec_lo, s18
	s_and_saveexec_b32 s18, s4
	s_cbranch_execz .LBB0_333
; %bb.332:                              ;   in Loop: Header=BB0_70 Depth=1
	v_and_b32_e32 v52, 0x7ffffff8, v8
	v_and_b32_e32 v15, 7, v8
	s_delay_alu instid0(VALU_DEP_2) | instskip(SKIP_1) | instid1(VALU_DEP_3)
	v_cmp_eq_u64_e32 vcc_lo, 0x7ffffff8, v[52:53]
	v_cndmask_b32_e64 v9, v13, s14, vcc_lo
	v_mad_u64_u32 v[13:14], null, v15, 24, v[6:7]
	s_delay_alu instid0(VALU_DEP_2) | instskip(NEXT) | instid1(VALU_DEP_1)
	v_lshlrev_b32_e32 v8, 4, v9
	v_ashrrev_i32_e32 v9, 31, v8
	flat_store_b64 v[13:14], v[8:9] offset:8 dlc
	s_waitcnt_vscnt null, 0x0
.LBB0_333:                              ;   in Loop: Header=BB0_70 Depth=1
	s_or_b32 exec_lo, exec_lo, s18
	v_dual_mov_b32 v8, v10 :: v_dual_mov_b32 v9, v11
.LBB0_334:                              ;   in Loop: Header=BB0_70 Depth=1
	s_or_b32 exec_lo, exec_lo, s9
	s_and_saveexec_b32 s9, s5
	s_cbranch_execz .LBB0_356
; %bb.335:                              ;   in Loop: Header=BB0_70 Depth=1
	s_and_saveexec_b32 s18, s6
	s_delay_alu instid0(SALU_CYCLE_1)
	s_xor_b32 s18, exec_lo, s18
	s_cbranch_execz .LBB0_353
; %bb.336:                              ;   in Loop: Header=BB0_70 Depth=1
	s_and_saveexec_b32 s19, s7
	s_cbranch_execz .LBB0_352
; %bb.337:                              ;   in Loop: Header=BB0_70 Depth=1
	s_mov_b32 s21, exec_lo
	s_mov_b32 s20, exec_lo
	v_mbcnt_lo_u32_b32 v10, s21, 0
	s_waitcnt vmcnt(0) lgkmcnt(0)
	s_waitcnt_vscnt null, 0x0
	buffer_gl1_inv
	buffer_gl0_inv
	v_cmpx_eq_u32_e32 0, v10
	s_cbranch_execz .LBB0_339
; %bb.338:                              ;   in Loop: Header=BB0_70 Depth=1
	s_bcnt1_i32_b32 s21, s21
	s_delay_alu instid0(SALU_CYCLE_1)
	v_mov_b32_e32 v52, s21
	ds_add_u64 v0, v[52:53]
	s_cbranch_execnz .LBB0_419
.LBB0_339:                              ;   in Loop: Header=BB0_70 Depth=1
	s_or_b32 exec_lo, exec_lo, s20
	s_cbranch_execnz .LBB0_409
; %bb.340:                              ;   in Loop: Header=BB0_70 Depth=1
	ds_load_b64 v[10:11], v0
	v_add_co_u32 v50, vcc_lo, v50, v99
	v_add_co_ci_u32_e32 v51, vcc_lo, v51, v101, vcc_lo
	s_mov_b32 s20, exec_lo
	s_waitcnt lgkmcnt(0)
	s_delay_alu instid0(VALU_DEP_1)
	v_cmpx_lt_u64_e64 v[10:11], v[50:51]
	s_cbranch_execz .LBB0_351
; %bb.341:                              ;   in Loop: Header=BB0_70 Depth=1
	s_mov_b32 s21, 0
	s_mov_b32 s24, 0
                                        ; implicit-def: $sgpr22
                                        ; implicit-def: $sgpr23
	s_branch .LBB0_343
.LBB0_342:                              ;   in Loop: Header=BB0_343 Depth=2
	s_or_b32 exec_lo, exec_lo, s27
	s_delay_alu instid0(SALU_CYCLE_1) | instskip(NEXT) | instid1(SALU_CYCLE_1)
	s_and_b32 s25, exec_lo, s26
	s_or_b32 s21, s25, s21
	s_and_not1_b32 s22, s22, exec_lo
	s_and_b32 s25, s23, exec_lo
	s_delay_alu instid0(SALU_CYCLE_1)
	s_or_b32 s22, s22, s25
	s_and_not1_b32 exec_lo, exec_lo, s21
	s_cbranch_execz .LBB0_349
.LBB0_343:                              ;   Parent Loop BB0_70 Depth=1
                                        ; =>  This Inner Loop Header: Depth=2
	s_add_i32 s24, s24, 1
                                        ; implicit-def: $sgpr26
	s_delay_alu instid0(SALU_CYCLE_1) | instskip(SKIP_1) | instid1(SALU_CYCLE_1)
	s_cmpk_lg_i32 s24, 0x2710
	s_cselect_b32 s25, -1, 0
	s_and_b32 vcc_lo, exec_lo, s25
	s_cbranch_vccz .LBB0_347
.LBB0_344:                              ;   in Loop: Header=BB0_343 Depth=2
	s_and_not1_b32 s23, s23, exec_lo
	s_and_b32 s27, s26, exec_lo
	s_mov_b32 s26, -1
	s_or_b32 s23, s23, s27
	s_and_saveexec_b32 s27, s25
	s_cbranch_execz .LBB0_342
; %bb.345:                              ;   in Loop: Header=BB0_343 Depth=2
	s_sleep 1
	s_cbranch_execnz .LBB0_441
; %bb.346:                              ;   in Loop: Header=BB0_343 Depth=2
	ds_load_b64 v[10:11], v0
	s_and_not1_b32 s23, s23, exec_lo
	s_waitcnt lgkmcnt(0)
	v_cmp_ge_u64_e32 vcc_lo, v[10:11], v[50:51]
	s_or_not1_b32 s26, vcc_lo, exec_lo
	s_branch .LBB0_342
.LBB0_347:                              ;   in Loop: Header=BB0_343 Depth=2
	s_cbranch_execnz .LBB0_445
; %bb.348:                              ;   in Loop: Header=BB0_343 Depth=2
	ds_load_b64 v[10:11], v0
	s_and_not1_b32 s25, s25, exec_lo
	s_mov_b32 s24, 0
	s_mov_b32 s26, -1
	s_waitcnt lgkmcnt(0)
	flat_load_b32 v10, v[10:11] glc
	s_waitcnt vmcnt(0) lgkmcnt(0)
	buffer_gl1_inv
	buffer_gl0_inv
	v_cmp_eq_u32_e32 vcc_lo, 0, v10
	s_and_b32 s27, vcc_lo, exec_lo
	s_delay_alu instid0(SALU_CYCLE_1)
	s_or_b32 s25, s25, s27
	s_branch .LBB0_344
.LBB0_349:                              ;   in Loop: Header=BB0_70 Depth=1
	s_or_b32 exec_lo, exec_lo, s21
	s_and_saveexec_b32 s21, s22
	s_delay_alu instid0(SALU_CYCLE_1)
	s_xor_b32 s21, exec_lo, s21
	s_cbranch_execz .LBB0_351
; %bb.350:                              ;   in Loop: Header=BB0_70 Depth=1
	ds_store_b32 v0, v118
	s_cbranch_execnz .LBB0_469
.LBB0_351:                              ;   in Loop: Header=BB0_70 Depth=1
	s_or_b32 exec_lo, exec_lo, s20
	;;#ASMSTART
	s_wakeup
	;;#ASMEND
.LBB0_352:                              ;   in Loop: Header=BB0_70 Depth=1
	s_or_b32 exec_lo, exec_lo, s19
.LBB0_353:                              ;   in Loop: Header=BB0_70 Depth=1
	s_and_not1_saveexec_b32 s18, s18
	s_cbranch_execz .LBB0_355
; %bb.354:                              ;   in Loop: Header=BB0_70 Depth=1
	s_waitcnt vmcnt(0) lgkmcnt(0)
	s_waitcnt_vscnt null, 0x0
	buffer_gl1_inv
	buffer_gl0_inv
	s_barrier
.LBB0_355:                              ;   in Loop: Header=BB0_70 Depth=1
	s_or_b32 exec_lo, exec_lo, s18
.LBB0_356:                              ;   in Loop: Header=BB0_70 Depth=1
	s_delay_alu instid0(SALU_CYCLE_1) | instskip(SKIP_3) | instid1(VALU_DEP_2)
	s_or_b32 exec_lo, exec_lo, s9
	v_sub_nc_u32_e32 v52, v12, v100
	v_dual_mov_b32 v14, v0 :: v_dual_and_b32 v17, 7, v34
	s_mov_b32 s18, exec_lo
	v_cmpx_lt_i32_e32 0, v52
	s_cbranch_execz .LBB0_364
; %bb.357:                              ;   in Loop: Header=BB0_70 Depth=1
	s_delay_alu instid0(VALU_DEP_2)
	v_mul_lo_u32 v10, v17, s14
	v_mov_b32_e32 v14, v34
	v_add_co_u32 v87, vcc_lo, 0, 0
	v_dual_mov_b32 v86, v3 :: v_dual_mov_b32 v15, v66
	v_mov_b32_e32 v16, v67
	s_mov_b32 s19, 0
	v_ashrrev_i32_e32 v11, 31, v10
	s_delay_alu instid0(VALU_DEP_1) | instskip(SKIP_2) | instid1(VALU_DEP_3)
	v_lshlrev_b64 v[12:13], 4, v[10:11]
	v_add_co_ci_u32_e32 v11, vcc_lo, 1, v14, vcc_lo
	v_mov_b32_e32 v14, v0
	v_add_co_u32 v82, vcc_lo, v1, v12
	s_delay_alu instid0(VALU_DEP_4)
	v_add_co_ci_u32_e32 v83, vcc_lo, v117, v13, vcc_lo
	s_set_inst_prefetch_distance 0x1
	s_branch .LBB0_359
.LBB0_358:                              ;   in Loop: Header=BB0_359 Depth=2
	s_or_b32 exec_lo, exec_lo, s9
	s_waitcnt vmcnt(0) lgkmcnt(0)
	v_alignbit_b32 v10, v97, v10, v86
	v_alignbit_b32 v12, v96, v97, v86
	v_dual_mov_b32 v13, v11 :: v_dual_add_nc_u32 v14, v14, v2
	v_sub_nc_u32_e32 v52, v52, v102
	s_delay_alu instid0(VALU_DEP_4) | instskip(NEXT) | instid1(VALU_DEP_4)
	v_or_b32_e32 v10, v87, v10
	v_or_b32_e32 v12, v87, v12
	v_add_co_u32 v15, vcc_lo, v15, v102
	v_add_co_ci_u32_e32 v16, vcc_lo, v16, v114, vcc_lo
	global_store_b128 v[82:83], v[10:13], off
	v_cmp_gt_i32_e32 vcc_lo, 1, v52
	v_add_co_u32 v82, s9, v82, v68
	v_add_nc_u32_e32 v86, v86, v116
	v_add_co_ci_u32_e64 v83, s9, v83, v69, s9
	s_or_b32 s19, vcc_lo, s19
	s_delay_alu instid0(SALU_CYCLE_1)
	s_and_not1_b32 exec_lo, exec_lo, s19
	s_cbranch_execz .LBB0_363
.LBB0_359:                              ;   Parent Loop BB0_70 Depth=1
                                        ; =>  This Inner Loop Header: Depth=2
	v_dual_mov_b32 v13, v16 :: v_dual_and_b32 v12, -4, v15
	v_min_u32_e32 v84, 8, v52
	v_dual_mov_b32 v96, 0 :: v_dual_and_b32 v85, 3, v15
	v_mov_b32_e32 v97, 0
	flat_load_b32 v10, v[12:13] glc
	v_add_co_u32 v84, s9, v85, v84
	s_delay_alu instid0(VALU_DEP_1) | instskip(SKIP_1) | instid1(VALU_DEP_1)
	v_add_co_ci_u32_e64 v85, null, 0, 0, s9
	s_mov_b32 s9, exec_lo
	v_cmpx_lt_u64_e32 4, v[84:85]
	s_cbranch_execz .LBB0_361
; %bb.360:                              ;   in Loop: Header=BB0_359 Depth=2
	flat_load_b32 v97, v[12:13] offset:4 glc
.LBB0_361:                              ;   in Loop: Header=BB0_359 Depth=2
	s_or_b32 exec_lo, exec_lo, s9
	s_delay_alu instid0(SALU_CYCLE_1)
	s_mov_b32 s9, exec_lo
	v_cmpx_lt_u64_e32 8, v[84:85]
	s_cbranch_execz .LBB0_358
; %bb.362:                              ;   in Loop: Header=BB0_359 Depth=2
	flat_load_b32 v96, v[12:13] offset:8 glc
	s_branch .LBB0_358
.LBB0_363:                              ;   in Loop: Header=BB0_70 Depth=1
	s_set_inst_prefetch_distance 0x2
	s_or_b32 exec_lo, exec_lo, s19
.LBB0_364:                              ;   in Loop: Header=BB0_70 Depth=1
	s_delay_alu instid0(SALU_CYCLE_1) | instskip(SKIP_2) | instid1(VALU_DEP_2)
	s_or_b32 exec_lo, exec_lo, s18
	v_and_b32_e32 v52, 0x7ffffff8, v34
	v_cmp_gt_i32_e64 s9, s14, v14
	v_cmp_eq_u64_e32 vcc_lo, 0x7ffffff8, v[52:53]
	s_delay_alu instid0(VALU_DEP_2) | instskip(NEXT) | instid1(SALU_CYCLE_1)
	s_and_b32 s9, vcc_lo, s9
	s_and_saveexec_b32 s18, s9
	s_cbranch_execz .LBB0_67
; %bb.365:                              ;   in Loop: Header=BB0_70 Depth=1
	v_mul_lo_u32 v10, v17, s14
	v_ashrrev_i32_e32 v15, 31, v14
	s_mov_b32 s19, 0
	s_delay_alu instid0(VALU_DEP_1) | instskip(SKIP_1) | instid1(VALU_DEP_4)
	v_lshlrev_b64 v[12:13], 4, v[14:15]
	v_mov_b32_e32 v15, v34
	v_ashrrev_i32_e32 v11, 31, v10
	s_delay_alu instid0(VALU_DEP_1) | instskip(NEXT) | instid1(VALU_DEP_1)
	v_lshlrev_b64 v[10:11], 4, v[10:11]
	v_add_co_u32 v12, vcc_lo, v12, v10
	s_delay_alu instid0(VALU_DEP_2) | instskip(SKIP_2) | instid1(VALU_DEP_4)
	v_add_co_ci_u32_e32 v13, vcc_lo, v13, v11, vcc_lo
	v_add_co_u32 v10, vcc_lo, 0, 0
	v_add_co_ci_u32_e32 v11, vcc_lo, 1, v15, vcc_lo
	v_add_co_u32 v15, vcc_lo, v32, v12
	s_delay_alu instid0(VALU_DEP_4)
	v_add_co_ci_u32_e32 v16, vcc_lo, v33, v13, vcc_lo
.LBB0_366:                              ;   Parent Loop BB0_70 Depth=1
                                        ; =>  This Inner Loop Header: Depth=2
	s_delay_alu instid0(VALU_DEP_3) | instskip(SKIP_4) | instid1(VALU_DEP_1)
	v_dual_mov_b32 v12, v10 :: v_dual_mov_b32 v13, v11
	v_add_nc_u32_e32 v14, v14, v2
	global_store_b128 v[15:16], v[10:13], off
	v_cmp_le_i32_e32 vcc_lo, s14, v14
	v_add_co_u32 v15, s9, v15, v68
	v_add_co_ci_u32_e64 v16, s9, v16, v69, s9
	s_or_b32 s19, vcc_lo, s19
	s_delay_alu instid0(SALU_CYCLE_1)
	s_and_not1_b32 exec_lo, exec_lo, s19
	s_cbranch_execnz .LBB0_366
	s_branch .LBB0_67
.LBB0_367:
	s_trap 2
	s_sendmsg_rtn_b32 s0, sendmsg(MSG_RTN_GET_DOORBELL)
	s_mov_b32 ttmp2, m0
	s_waitcnt lgkmcnt(0)
	s_and_b32 s0, s0, 0x3ff
	s_delay_alu instid0(SALU_CYCLE_1) | instskip(NEXT) | instid1(SALU_CYCLE_1)
	s_bitset1_b32 s0, 10
	s_mov_b32 m0, s0
	s_sendmsg sendmsg(MSG_INTERRUPT)
	s_mov_b32 m0, ttmp2
.LBB0_368:                              ; =>This Inner Loop Header: Depth=1
	s_sethalt 5
	s_branch .LBB0_368
.LBB0_369:
	s_trap 2
	s_sendmsg_rtn_b32 s0, sendmsg(MSG_RTN_GET_DOORBELL)
	s_mov_b32 ttmp2, m0
	s_waitcnt lgkmcnt(0)
	s_and_b32 s0, s0, 0x3ff
	s_delay_alu instid0(SALU_CYCLE_1) | instskip(NEXT) | instid1(SALU_CYCLE_1)
	s_bitset1_b32 s0, 10
	s_mov_b32 m0, s0
	s_sendmsg sendmsg(MSG_INTERRUPT)
	s_mov_b32 m0, ttmp2
.LBB0_370:                              ; =>This Inner Loop Header: Depth=1
	s_sethalt 5
	s_branch .LBB0_370
.LBB0_371:
	s_or_b32 exec_lo, exec_lo, s15
.LBB0_372:
	s_delay_alu instid0(SALU_CYCLE_1)
	s_or_b32 exec_lo, exec_lo, s13
	s_and_saveexec_b32 s1, s12
	s_cbranch_execz .LBB0_374
; %bb.373:
	s_waitcnt lgkmcnt(0)
	flat_store_b64 v[20:21], v[36:37] offset:104
.LBB0_374:
	s_or_b32 exec_lo, exec_lo, s1
	s_and_saveexec_b32 s1, s0
	s_cbranch_execz .LBB0_376
; %bb.375:
	s_waitcnt lgkmcnt(0)
	flat_store_b64 v[26:27], v[8:9] offset:104
.LBB0_376:
	s_or_b32 exec_lo, exec_lo, s1
	s_delay_alu instid0(SALU_CYCLE_1)
	s_mov_b32 s0, exec_lo
	v_cmpx_ne_u32_e32 32, v2
	s_cbranch_execz .LBB0_461
; %bb.377:
	s_mov_b32 s1, exec_lo
	v_cmpx_ne_u32_e64 v2, v30
	s_xor_b32 s1, exec_lo, s1
	s_cbranch_execz .LBB0_459
; %bb.378:
	v_and_b32_e32 v0, 31, v31
	s_mov_b32 s2, exec_lo
	s_delay_alu instid0(VALU_DEP_1)
	v_cmpx_eq_u32_e32 0, v0
	s_cbranch_execz .LBB0_458
; %bb.379:
	s_mov_b32 s4, exec_lo
	s_mov_b32 s3, exec_lo
	v_mbcnt_lo_u32_b32 v0, s4, 0
	s_waitcnt vmcnt(0) lgkmcnt(0)
	s_waitcnt_vscnt null, 0x0
	buffer_gl1_inv
	buffer_gl0_inv
	v_cmpx_eq_u32_e32 0, v0
	s_cbranch_execz .LBB0_381
; %bb.380:
	s_bcnt1_i32_b32 s4, s4
	s_delay_alu instid0(SALU_CYCLE_1)
	v_dual_mov_b32 v1, 0 :: v_dual_mov_b32 v0, s4
	ds_add_u64 v0, v[0:1]
	s_cbranch_execnz .LBB0_403
.LBB0_381:
	s_or_b32 exec_lo, exec_lo, s3
	s_cbranch_execnz .LBB0_388
; %bb.382:
	v_ashrrev_i32_e32 v0, 31, v2
	s_mov_b32 s3, exec_lo
	s_delay_alu instid0(VALU_DEP_1) | instskip(NEXT) | instid1(VALU_DEP_1)
	v_lshrrev_b32_e32 v0, 27, v0
	v_add_nc_u32_e32 v0, v2, v0
	ds_load_b64 v[2:3], v0
	v_ashrrev_i32_e32 v0, 5, v0
	s_delay_alu instid0(VALU_DEP_1) | instskip(SKIP_1) | instid1(VALU_DEP_2)
	v_ashrrev_i32_e32 v1, 31, v0
	v_add_co_u32 v0, vcc_lo, v50, v0
	v_add_co_ci_u32_e32 v1, vcc_lo, v51, v1, vcc_lo
	s_waitcnt lgkmcnt(0)
	s_delay_alu instid0(VALU_DEP_1)
	v_cmpx_lt_u64_e64 v[2:3], v[0:1]
	s_cbranch_execz .LBB0_457
; %bb.383:
	s_mov_b32 s4, 0
	s_mov_b32 s7, 0
                                        ; implicit-def: $sgpr5
                                        ; implicit-def: $sgpr6
	s_branch .LBB0_397
.LBB0_384:
	s_trap 2
	s_sendmsg_rtn_b32 s0, sendmsg(MSG_RTN_GET_DOORBELL)
	s_mov_b32 ttmp2, m0
	s_waitcnt lgkmcnt(0)
	s_and_b32 s0, s0, 0x3ff
	s_delay_alu instid0(SALU_CYCLE_1) | instskip(NEXT) | instid1(SALU_CYCLE_1)
	s_bitset1_b32 s0, 10
	s_mov_b32 m0, s0
	s_sendmsg sendmsg(MSG_INTERRUPT)
	s_mov_b32 m0, ttmp2
.LBB0_385:                              ; =>This Inner Loop Header: Depth=1
	s_sethalt 5
	s_branch .LBB0_385
.LBB0_386:
	s_trap 2
	s_sendmsg_rtn_b32 s0, sendmsg(MSG_RTN_GET_DOORBELL)
	s_mov_b32 ttmp2, m0
	s_waitcnt lgkmcnt(0)
	s_and_b32 s0, s0, 0x3ff
	s_delay_alu instid0(SALU_CYCLE_1) | instskip(NEXT) | instid1(SALU_CYCLE_1)
	s_bitset1_b32 s0, 10
	s_mov_b32 m0, s0
	s_sendmsg sendmsg(MSG_INTERRUPT)
	s_mov_b32 m0, ttmp2
.LBB0_387:                              ; =>This Inner Loop Header: Depth=1
	s_sethalt 5
	s_branch .LBB0_387
.LBB0_388:
	s_trap 2
	s_sendmsg_rtn_b32 s0, sendmsg(MSG_RTN_GET_DOORBELL)
	s_mov_b32 ttmp2, m0
	s_waitcnt lgkmcnt(0)
	s_and_b32 s0, s0, 0x3ff
	s_delay_alu instid0(SALU_CYCLE_1) | instskip(NEXT) | instid1(SALU_CYCLE_1)
	s_bitset1_b32 s0, 10
	s_mov_b32 m0, s0
	s_sendmsg sendmsg(MSG_INTERRUPT)
	s_mov_b32 m0, ttmp2
.LBB0_389:                              ; =>This Inner Loop Header: Depth=1
	s_sethalt 5
	s_branch .LBB0_389
.LBB0_390:
	s_trap 2
	s_sendmsg_rtn_b32 s0, sendmsg(MSG_RTN_GET_DOORBELL)
	s_mov_b32 ttmp2, m0
	s_waitcnt lgkmcnt(0)
	s_and_b32 s0, s0, 0x3ff
	s_delay_alu instid0(SALU_CYCLE_1) | instskip(NEXT) | instid1(SALU_CYCLE_1)
	s_bitset1_b32 s0, 10
	s_mov_b32 m0, s0
	s_sendmsg sendmsg(MSG_INTERRUPT)
	s_mov_b32 m0, ttmp2
.LBB0_391:                              ; =>This Inner Loop Header: Depth=1
	s_sethalt 5
	s_branch .LBB0_391
.LBB0_392:
	s_trap 2
	s_sendmsg_rtn_b32 s0, sendmsg(MSG_RTN_GET_DOORBELL)
	s_mov_b32 ttmp2, m0
	s_waitcnt lgkmcnt(0)
	s_and_b32 s0, s0, 0x3ff
	s_delay_alu instid0(SALU_CYCLE_1) | instskip(NEXT) | instid1(SALU_CYCLE_1)
	s_bitset1_b32 s0, 10
	s_mov_b32 m0, s0
	s_sendmsg sendmsg(MSG_INTERRUPT)
	s_mov_b32 m0, ttmp2
.LBB0_393:                              ; =>This Inner Loop Header: Depth=1
	s_sethalt 5
	s_branch .LBB0_393
.LBB0_394:
	s_trap 2
	s_sendmsg_rtn_b32 s0, sendmsg(MSG_RTN_GET_DOORBELL)
	s_mov_b32 ttmp2, m0
	s_waitcnt lgkmcnt(0)
	s_and_b32 s0, s0, 0x3ff
	s_delay_alu instid0(SALU_CYCLE_1) | instskip(NEXT) | instid1(SALU_CYCLE_1)
	s_bitset1_b32 s0, 10
	s_mov_b32 m0, s0
	s_sendmsg sendmsg(MSG_INTERRUPT)
	s_mov_b32 m0, ttmp2
.LBB0_395:                              ; =>This Inner Loop Header: Depth=1
	s_sethalt 5
	s_branch .LBB0_395
.LBB0_396:                              ;   in Loop: Header=BB0_397 Depth=1
	s_or_b32 exec_lo, exec_lo, s10
	s_delay_alu instid0(SALU_CYCLE_1) | instskip(NEXT) | instid1(SALU_CYCLE_1)
	s_and_b32 s8, exec_lo, s9
	s_or_b32 s4, s8, s4
	s_and_not1_b32 s5, s5, exec_lo
	s_and_b32 s8, s6, exec_lo
	s_delay_alu instid0(SALU_CYCLE_1)
	s_or_b32 s5, s5, s8
	s_and_not1_b32 exec_lo, exec_lo, s4
	s_cbranch_execz .LBB0_455
.LBB0_397:                              ; =>This Inner Loop Header: Depth=1
	s_add_i32 s7, s7, 1
                                        ; implicit-def: $sgpr9
	s_delay_alu instid0(SALU_CYCLE_1) | instskip(SKIP_1) | instid1(SALU_CYCLE_1)
	s_cmpk_lg_i32 s7, 0x2710
	s_cselect_b32 s8, -1, 0
	s_and_b32 vcc_lo, exec_lo, s8
	s_cbranch_vccz .LBB0_401
.LBB0_398:                              ;   in Loop: Header=BB0_397 Depth=1
	s_and_not1_b32 s6, s6, exec_lo
	s_and_b32 s10, s9, exec_lo
	s_mov_b32 s9, -1
	s_or_b32 s6, s6, s10
	s_and_saveexec_b32 s10, s8
	s_cbranch_execz .LBB0_396
; %bb.399:                              ;   in Loop: Header=BB0_397 Depth=1
	s_sleep 1
	s_cbranch_execnz .LBB0_423
; %bb.400:                              ;   in Loop: Header=BB0_397 Depth=1
	ds_load_b64 v[2:3], v0
	s_and_not1_b32 s6, s6, exec_lo
	s_waitcnt lgkmcnt(0)
	v_cmp_ge_u64_e32 vcc_lo, v[2:3], v[0:1]
	s_or_not1_b32 s9, vcc_lo, exec_lo
	s_branch .LBB0_396
.LBB0_401:                              ;   in Loop: Header=BB0_397 Depth=1
	s_cbranch_execnz .LBB0_429
; %bb.402:                              ;   in Loop: Header=BB0_397 Depth=1
	ds_load_b64 v[2:3], v0
	s_and_not1_b32 s8, s8, exec_lo
	s_mov_b32 s7, 0
	s_mov_b32 s9, -1
	s_waitcnt lgkmcnt(0)
	flat_load_b32 v2, v[2:3] glc
	s_waitcnt vmcnt(0) lgkmcnt(0)
	buffer_gl1_inv
	buffer_gl0_inv
	v_cmp_eq_u32_e32 vcc_lo, 0, v2
	s_and_b32 s10, vcc_lo, exec_lo
	s_delay_alu instid0(SALU_CYCLE_1)
	s_or_b32 s8, s8, s10
	s_branch .LBB0_398
.LBB0_403:
	s_trap 2
	s_sendmsg_rtn_b32 s0, sendmsg(MSG_RTN_GET_DOORBELL)
	s_mov_b32 ttmp2, m0
	s_waitcnt lgkmcnt(0)
	s_and_b32 s0, s0, 0x3ff
	s_delay_alu instid0(SALU_CYCLE_1) | instskip(NEXT) | instid1(SALU_CYCLE_1)
	s_bitset1_b32 s0, 10
	s_mov_b32 m0, s0
	s_sendmsg sendmsg(MSG_INTERRUPT)
	s_mov_b32 m0, ttmp2
.LBB0_404:                              ; =>This Inner Loop Header: Depth=1
	s_sethalt 5
	s_branch .LBB0_404
.LBB0_405:
	s_trap 2
	s_sendmsg_rtn_b32 s0, sendmsg(MSG_RTN_GET_DOORBELL)
	s_mov_b32 ttmp2, m0
	s_waitcnt lgkmcnt(0)
	s_and_b32 s0, s0, 0x3ff
	s_delay_alu instid0(SALU_CYCLE_1) | instskip(NEXT) | instid1(SALU_CYCLE_1)
	s_bitset1_b32 s0, 10
	s_mov_b32 m0, s0
	s_sendmsg sendmsg(MSG_INTERRUPT)
	s_mov_b32 m0, ttmp2
.LBB0_406:                              ; =>This Inner Loop Header: Depth=1
	s_sethalt 5
	s_branch .LBB0_406
.LBB0_407:
	s_trap 2
	s_sendmsg_rtn_b32 s0, sendmsg(MSG_RTN_GET_DOORBELL)
	s_mov_b32 ttmp2, m0
	s_waitcnt lgkmcnt(0)
	s_and_b32 s0, s0, 0x3ff
	s_delay_alu instid0(SALU_CYCLE_1) | instskip(NEXT) | instid1(SALU_CYCLE_1)
	s_bitset1_b32 s0, 10
	s_mov_b32 m0, s0
	s_sendmsg sendmsg(MSG_INTERRUPT)
	s_mov_b32 m0, ttmp2
.LBB0_408:                              ; =>This Inner Loop Header: Depth=1
	s_sethalt 5
	s_branch .LBB0_408
.LBB0_409:
	s_trap 2
	s_sendmsg_rtn_b32 s0, sendmsg(MSG_RTN_GET_DOORBELL)
	s_mov_b32 ttmp2, m0
	s_waitcnt lgkmcnt(0)
	s_and_b32 s0, s0, 0x3ff
	s_delay_alu instid0(SALU_CYCLE_1) | instskip(NEXT) | instid1(SALU_CYCLE_1)
	s_bitset1_b32 s0, 10
	s_mov_b32 m0, s0
	s_sendmsg sendmsg(MSG_INTERRUPT)
	s_mov_b32 m0, ttmp2
.LBB0_410:                              ; =>This Inner Loop Header: Depth=1
	s_sethalt 5
	s_branch .LBB0_410
.LBB0_411:
	s_trap 2
	s_sendmsg_rtn_b32 s0, sendmsg(MSG_RTN_GET_DOORBELL)
	s_mov_b32 ttmp2, m0
	s_waitcnt lgkmcnt(0)
	s_and_b32 s0, s0, 0x3ff
	s_delay_alu instid0(SALU_CYCLE_1) | instskip(NEXT) | instid1(SALU_CYCLE_1)
	s_bitset1_b32 s0, 10
	s_mov_b32 m0, s0
	s_sendmsg sendmsg(MSG_INTERRUPT)
	s_mov_b32 m0, ttmp2
.LBB0_412:                              ; =>This Inner Loop Header: Depth=1
	s_sethalt 5
	s_branch .LBB0_412
.LBB0_413:
	s_trap 2
	s_sendmsg_rtn_b32 s0, sendmsg(MSG_RTN_GET_DOORBELL)
	s_mov_b32 ttmp2, m0
	s_waitcnt lgkmcnt(0)
	s_and_b32 s0, s0, 0x3ff
	s_delay_alu instid0(SALU_CYCLE_1) | instskip(NEXT) | instid1(SALU_CYCLE_1)
	s_bitset1_b32 s0, 10
	s_mov_b32 m0, s0
	s_sendmsg sendmsg(MSG_INTERRUPT)
	s_mov_b32 m0, ttmp2
.LBB0_414:                              ; =>This Inner Loop Header: Depth=1
	s_sethalt 5
	s_branch .LBB0_414
.LBB0_415:
	s_trap 2
	s_sendmsg_rtn_b32 s0, sendmsg(MSG_RTN_GET_DOORBELL)
	s_mov_b32 ttmp2, m0
	s_waitcnt lgkmcnt(0)
	s_and_b32 s0, s0, 0x3ff
	s_delay_alu instid0(SALU_CYCLE_1) | instskip(NEXT) | instid1(SALU_CYCLE_1)
	s_bitset1_b32 s0, 10
	s_mov_b32 m0, s0
	s_sendmsg sendmsg(MSG_INTERRUPT)
	s_mov_b32 m0, ttmp2
.LBB0_416:                              ; =>This Inner Loop Header: Depth=1
	s_sethalt 5
	s_branch .LBB0_416
.LBB0_417:
	s_trap 2
	s_sendmsg_rtn_b32 s0, sendmsg(MSG_RTN_GET_DOORBELL)
	s_mov_b32 ttmp2, m0
	s_waitcnt lgkmcnt(0)
	s_and_b32 s0, s0, 0x3ff
	s_delay_alu instid0(SALU_CYCLE_1) | instskip(NEXT) | instid1(SALU_CYCLE_1)
	s_bitset1_b32 s0, 10
	s_mov_b32 m0, s0
	s_sendmsg sendmsg(MSG_INTERRUPT)
	s_mov_b32 m0, ttmp2
.LBB0_418:                              ; =>This Inner Loop Header: Depth=1
	s_sethalt 5
	s_branch .LBB0_418
.LBB0_419:
	s_trap 2
	s_sendmsg_rtn_b32 s0, sendmsg(MSG_RTN_GET_DOORBELL)
	s_mov_b32 ttmp2, m0
	s_waitcnt lgkmcnt(0)
	s_and_b32 s0, s0, 0x3ff
	s_delay_alu instid0(SALU_CYCLE_1) | instskip(NEXT) | instid1(SALU_CYCLE_1)
	s_bitset1_b32 s0, 10
	s_mov_b32 m0, s0
	s_sendmsg sendmsg(MSG_INTERRUPT)
	s_mov_b32 m0, ttmp2
.LBB0_420:                              ; =>This Inner Loop Header: Depth=1
	s_sethalt 5
	s_branch .LBB0_420
.LBB0_421:
	s_trap 2
	s_sendmsg_rtn_b32 s0, sendmsg(MSG_RTN_GET_DOORBELL)
	s_mov_b32 ttmp2, m0
	s_waitcnt lgkmcnt(0)
	s_and_b32 s0, s0, 0x3ff
	s_delay_alu instid0(SALU_CYCLE_1) | instskip(NEXT) | instid1(SALU_CYCLE_1)
	s_bitset1_b32 s0, 10
	s_mov_b32 m0, s0
	s_sendmsg sendmsg(MSG_INTERRUPT)
	s_mov_b32 m0, ttmp2
.LBB0_422:                              ; =>This Inner Loop Header: Depth=1
	s_sethalt 5
	s_branch .LBB0_422
.LBB0_423:
	s_trap 2
	s_sendmsg_rtn_b32 s0, sendmsg(MSG_RTN_GET_DOORBELL)
	s_mov_b32 ttmp2, m0
	s_waitcnt lgkmcnt(0)
	s_and_b32 s0, s0, 0x3ff
	s_delay_alu instid0(SALU_CYCLE_1) | instskip(NEXT) | instid1(SALU_CYCLE_1)
	s_bitset1_b32 s0, 10
	s_mov_b32 m0, s0
	s_sendmsg sendmsg(MSG_INTERRUPT)
	s_mov_b32 m0, ttmp2
.LBB0_424:                              ; =>This Inner Loop Header: Depth=1
	s_sethalt 5
	s_branch .LBB0_424
.LBB0_425:
	s_trap 2
	s_sendmsg_rtn_b32 s0, sendmsg(MSG_RTN_GET_DOORBELL)
	s_mov_b32 ttmp2, m0
	s_waitcnt lgkmcnt(0)
	s_and_b32 s0, s0, 0x3ff
	s_delay_alu instid0(SALU_CYCLE_1) | instskip(NEXT) | instid1(SALU_CYCLE_1)
	s_bitset1_b32 s0, 10
	s_mov_b32 m0, s0
	s_sendmsg sendmsg(MSG_INTERRUPT)
	s_mov_b32 m0, ttmp2
.LBB0_426:                              ; =>This Inner Loop Header: Depth=1
	s_sethalt 5
	s_branch .LBB0_426
.LBB0_427:
	s_trap 2
	s_sendmsg_rtn_b32 s0, sendmsg(MSG_RTN_GET_DOORBELL)
	s_mov_b32 ttmp2, m0
	s_waitcnt lgkmcnt(0)
	s_and_b32 s0, s0, 0x3ff
	s_delay_alu instid0(SALU_CYCLE_1) | instskip(NEXT) | instid1(SALU_CYCLE_1)
	s_bitset1_b32 s0, 10
	s_mov_b32 m0, s0
	s_sendmsg sendmsg(MSG_INTERRUPT)
	s_mov_b32 m0, ttmp2
.LBB0_428:                              ; =>This Inner Loop Header: Depth=1
	s_sethalt 5
	s_branch .LBB0_428
.LBB0_429:
	s_trap 2
	s_sendmsg_rtn_b32 s0, sendmsg(MSG_RTN_GET_DOORBELL)
	s_mov_b32 ttmp2, m0
	s_waitcnt lgkmcnt(0)
	s_and_b32 s0, s0, 0x3ff
	s_delay_alu instid0(SALU_CYCLE_1) | instskip(NEXT) | instid1(SALU_CYCLE_1)
	s_bitset1_b32 s0, 10
	s_mov_b32 m0, s0
	s_sendmsg sendmsg(MSG_INTERRUPT)
	s_mov_b32 m0, ttmp2
.LBB0_430:                              ; =>This Inner Loop Header: Depth=1
	s_sethalt 5
	s_branch .LBB0_430
.LBB0_431:
	s_trap 2
	s_sendmsg_rtn_b32 s0, sendmsg(MSG_RTN_GET_DOORBELL)
	s_mov_b32 ttmp2, m0
	s_waitcnt lgkmcnt(0)
	s_and_b32 s0, s0, 0x3ff
	s_delay_alu instid0(SALU_CYCLE_1) | instskip(NEXT) | instid1(SALU_CYCLE_1)
	s_bitset1_b32 s0, 10
	s_mov_b32 m0, s0
	s_sendmsg sendmsg(MSG_INTERRUPT)
	s_mov_b32 m0, ttmp2
.LBB0_432:                              ; =>This Inner Loop Header: Depth=1
	s_sethalt 5
	s_branch .LBB0_432
.LBB0_433:
	s_trap 2
	s_sendmsg_rtn_b32 s0, sendmsg(MSG_RTN_GET_DOORBELL)
	s_mov_b32 ttmp2, m0
	s_waitcnt lgkmcnt(0)
	s_and_b32 s0, s0, 0x3ff
	s_delay_alu instid0(SALU_CYCLE_1) | instskip(NEXT) | instid1(SALU_CYCLE_1)
	s_bitset1_b32 s0, 10
	s_mov_b32 m0, s0
	s_sendmsg sendmsg(MSG_INTERRUPT)
	s_mov_b32 m0, ttmp2
.LBB0_434:                              ; =>This Inner Loop Header: Depth=1
	s_sethalt 5
	s_branch .LBB0_434
.LBB0_435:
	s_trap 2
	s_sendmsg_rtn_b32 s0, sendmsg(MSG_RTN_GET_DOORBELL)
	s_mov_b32 ttmp2, m0
	s_waitcnt lgkmcnt(0)
	s_and_b32 s0, s0, 0x3ff
	s_delay_alu instid0(SALU_CYCLE_1) | instskip(NEXT) | instid1(SALU_CYCLE_1)
	s_bitset1_b32 s0, 10
	s_mov_b32 m0, s0
	s_sendmsg sendmsg(MSG_INTERRUPT)
	s_mov_b32 m0, ttmp2
.LBB0_436:                              ; =>This Inner Loop Header: Depth=1
	s_sethalt 5
	s_branch .LBB0_436
.LBB0_437:
	s_trap 2
	s_sendmsg_rtn_b32 s0, sendmsg(MSG_RTN_GET_DOORBELL)
	s_mov_b32 ttmp2, m0
	s_waitcnt lgkmcnt(0)
	s_and_b32 s0, s0, 0x3ff
	s_delay_alu instid0(SALU_CYCLE_1) | instskip(NEXT) | instid1(SALU_CYCLE_1)
	s_bitset1_b32 s0, 10
	s_mov_b32 m0, s0
	s_sendmsg sendmsg(MSG_INTERRUPT)
	s_mov_b32 m0, ttmp2
.LBB0_438:                              ; =>This Inner Loop Header: Depth=1
	s_sethalt 5
	s_branch .LBB0_438
.LBB0_439:
	s_trap 2
	s_sendmsg_rtn_b32 s0, sendmsg(MSG_RTN_GET_DOORBELL)
	s_mov_b32 ttmp2, m0
	s_waitcnt lgkmcnt(0)
	s_and_b32 s0, s0, 0x3ff
	s_delay_alu instid0(SALU_CYCLE_1) | instskip(NEXT) | instid1(SALU_CYCLE_1)
	s_bitset1_b32 s0, 10
	s_mov_b32 m0, s0
	s_sendmsg sendmsg(MSG_INTERRUPT)
	s_mov_b32 m0, ttmp2
.LBB0_440:                              ; =>This Inner Loop Header: Depth=1
	s_sethalt 5
	s_branch .LBB0_440
.LBB0_441:
	s_trap 2
	s_sendmsg_rtn_b32 s0, sendmsg(MSG_RTN_GET_DOORBELL)
	s_mov_b32 ttmp2, m0
	s_waitcnt lgkmcnt(0)
	s_and_b32 s0, s0, 0x3ff
	s_delay_alu instid0(SALU_CYCLE_1) | instskip(NEXT) | instid1(SALU_CYCLE_1)
	s_bitset1_b32 s0, 10
	s_mov_b32 m0, s0
	s_sendmsg sendmsg(MSG_INTERRUPT)
	s_mov_b32 m0, ttmp2
.LBB0_442:                              ; =>This Inner Loop Header: Depth=1
	s_sethalt 5
	s_branch .LBB0_442
.LBB0_443:
	s_trap 2
	s_sendmsg_rtn_b32 s0, sendmsg(MSG_RTN_GET_DOORBELL)
	s_mov_b32 ttmp2, m0
	s_waitcnt lgkmcnt(0)
	s_and_b32 s0, s0, 0x3ff
	s_delay_alu instid0(SALU_CYCLE_1) | instskip(NEXT) | instid1(SALU_CYCLE_1)
	s_bitset1_b32 s0, 10
	s_mov_b32 m0, s0
	s_sendmsg sendmsg(MSG_INTERRUPT)
	s_mov_b32 m0, ttmp2
.LBB0_444:                              ; =>This Inner Loop Header: Depth=1
	s_sethalt 5
	s_branch .LBB0_444
.LBB0_445:
	s_trap 2
	s_sendmsg_rtn_b32 s0, sendmsg(MSG_RTN_GET_DOORBELL)
	s_mov_b32 ttmp2, m0
	s_waitcnt lgkmcnt(0)
	s_and_b32 s0, s0, 0x3ff
	s_delay_alu instid0(SALU_CYCLE_1) | instskip(NEXT) | instid1(SALU_CYCLE_1)
	s_bitset1_b32 s0, 10
	s_mov_b32 m0, s0
	s_sendmsg sendmsg(MSG_INTERRUPT)
	s_mov_b32 m0, ttmp2
.LBB0_446:                              ; =>This Inner Loop Header: Depth=1
	s_sethalt 5
	s_branch .LBB0_446
.LBB0_447:
	s_trap 2
	s_sendmsg_rtn_b32 s0, sendmsg(MSG_RTN_GET_DOORBELL)
	s_mov_b32 ttmp2, m0
	s_waitcnt lgkmcnt(0)
	s_and_b32 s0, s0, 0x3ff
	s_delay_alu instid0(SALU_CYCLE_1) | instskip(NEXT) | instid1(SALU_CYCLE_1)
	s_bitset1_b32 s0, 10
	s_mov_b32 m0, s0
	s_sendmsg sendmsg(MSG_INTERRUPT)
	s_mov_b32 m0, ttmp2
.LBB0_448:                              ; =>This Inner Loop Header: Depth=1
	s_sethalt 5
	s_branch .LBB0_448
.LBB0_449:
	s_trap 2
	s_sendmsg_rtn_b32 s0, sendmsg(MSG_RTN_GET_DOORBELL)
	s_mov_b32 ttmp2, m0
	s_waitcnt lgkmcnt(0)
	s_and_b32 s0, s0, 0x3ff
	s_delay_alu instid0(SALU_CYCLE_1) | instskip(NEXT) | instid1(SALU_CYCLE_1)
	s_bitset1_b32 s0, 10
	s_mov_b32 m0, s0
	s_sendmsg sendmsg(MSG_INTERRUPT)
	s_mov_b32 m0, ttmp2
.LBB0_450:                              ; =>This Inner Loop Header: Depth=1
	s_sethalt 5
	s_branch .LBB0_450
.LBB0_451:
	s_trap 2
	s_sendmsg_rtn_b32 s0, sendmsg(MSG_RTN_GET_DOORBELL)
	s_mov_b32 ttmp2, m0
	s_waitcnt lgkmcnt(0)
	s_and_b32 s0, s0, 0x3ff
	s_delay_alu instid0(SALU_CYCLE_1) | instskip(NEXT) | instid1(SALU_CYCLE_1)
	s_bitset1_b32 s0, 10
	s_mov_b32 m0, s0
	s_sendmsg sendmsg(MSG_INTERRUPT)
	s_mov_b32 m0, ttmp2
.LBB0_452:                              ; =>This Inner Loop Header: Depth=1
	s_sethalt 5
	s_branch .LBB0_452
.LBB0_453:
	s_trap 2
	s_sendmsg_rtn_b32 s0, sendmsg(MSG_RTN_GET_DOORBELL)
	s_mov_b32 ttmp2, m0
	s_waitcnt lgkmcnt(0)
	s_and_b32 s0, s0, 0x3ff
	s_delay_alu instid0(SALU_CYCLE_1) | instskip(NEXT) | instid1(SALU_CYCLE_1)
	s_bitset1_b32 s0, 10
	s_mov_b32 m0, s0
	s_sendmsg sendmsg(MSG_INTERRUPT)
	s_mov_b32 m0, ttmp2
.LBB0_454:                              ; =>This Inner Loop Header: Depth=1
	s_sethalt 5
	s_branch .LBB0_454
.LBB0_455:
	s_or_b32 exec_lo, exec_lo, s4
	s_and_saveexec_b32 s4, s5
	s_delay_alu instid0(SALU_CYCLE_1)
	s_xor_b32 s4, exec_lo, s4
	s_cbranch_execz .LBB0_457
; %bb.456:
	v_mov_b32_e32 v0, 1
	ds_store_b32 v0, v0
	s_cbranch_execnz .LBB0_463
.LBB0_457:
	s_or_b32 exec_lo, exec_lo, s3
	;;#ASMSTART
	s_wakeup
	;;#ASMEND
.LBB0_458:
	s_or_b32 exec_lo, exec_lo, s2
.LBB0_459:
	s_and_not1_saveexec_b32 s1, s1
	s_cbranch_execz .LBB0_461
; %bb.460:
	s_waitcnt vmcnt(0) lgkmcnt(0)
	s_waitcnt_vscnt null, 0x0
	buffer_gl1_inv
	buffer_gl0_inv
	s_barrier
.LBB0_461:
	s_or_b32 exec_lo, exec_lo, s0
.LBB0_462:
	s_delay_alu instid0(SALU_CYCLE_1)
	s_or_b32 exec_lo, exec_lo, s11
	s_waitcnt vmcnt(0) lgkmcnt(0)
	s_setpc_b64 s[30:31]
.LBB0_463:
	s_trap 2
	s_sendmsg_rtn_b32 s0, sendmsg(MSG_RTN_GET_DOORBELL)
	s_mov_b32 ttmp2, m0
	s_waitcnt lgkmcnt(0)
	s_and_b32 s0, s0, 0x3ff
	s_delay_alu instid0(SALU_CYCLE_1) | instskip(NEXT) | instid1(SALU_CYCLE_1)
	s_bitset1_b32 s0, 10
	s_mov_b32 m0, s0
	s_sendmsg sendmsg(MSG_INTERRUPT)
	s_mov_b32 m0, ttmp2
.LBB0_464:                              ; =>This Inner Loop Header: Depth=1
	s_sethalt 5
	s_branch .LBB0_464
.LBB0_465:
	s_trap 2
	s_sendmsg_rtn_b32 s0, sendmsg(MSG_RTN_GET_DOORBELL)
	s_mov_b32 ttmp2, m0
	s_waitcnt lgkmcnt(0)
	s_and_b32 s0, s0, 0x3ff
	s_delay_alu instid0(SALU_CYCLE_1) | instskip(NEXT) | instid1(SALU_CYCLE_1)
	s_bitset1_b32 s0, 10
	s_mov_b32 m0, s0
	s_sendmsg sendmsg(MSG_INTERRUPT)
	s_mov_b32 m0, ttmp2
.LBB0_466:                              ; =>This Inner Loop Header: Depth=1
	s_sethalt 5
	s_branch .LBB0_466
.LBB0_467:
	s_trap 2
	s_sendmsg_rtn_b32 s0, sendmsg(MSG_RTN_GET_DOORBELL)
	s_mov_b32 ttmp2, m0
	s_waitcnt lgkmcnt(0)
	s_and_b32 s0, s0, 0x3ff
	s_delay_alu instid0(SALU_CYCLE_1) | instskip(NEXT) | instid1(SALU_CYCLE_1)
	s_bitset1_b32 s0, 10
	s_mov_b32 m0, s0
	s_sendmsg sendmsg(MSG_INTERRUPT)
	s_mov_b32 m0, ttmp2
.LBB0_468:                              ; =>This Inner Loop Header: Depth=1
	s_sethalt 5
	s_branch .LBB0_468
.LBB0_469:
	s_trap 2
	s_sendmsg_rtn_b32 s0, sendmsg(MSG_RTN_GET_DOORBELL)
	s_mov_b32 ttmp2, m0
	s_waitcnt lgkmcnt(0)
	s_and_b32 s0, s0, 0x3ff
	s_delay_alu instid0(SALU_CYCLE_1) | instskip(NEXT) | instid1(SALU_CYCLE_1)
	s_bitset1_b32 s0, 10
	s_mov_b32 m0, s0
	s_sendmsg sendmsg(MSG_INTERRUPT)
	s_mov_b32 m0, ttmp2
.LBB0_470:                              ; =>This Inner Loop Header: Depth=1
	s_sethalt 5
	s_branch .LBB0_470
.LBB0_471:
	s_trap 2
	s_sendmsg_rtn_b32 s0, sendmsg(MSG_RTN_GET_DOORBELL)
	s_mov_b32 ttmp2, m0
	s_waitcnt lgkmcnt(0)
	s_and_b32 s0, s0, 0x3ff
	s_delay_alu instid0(SALU_CYCLE_1) | instskip(NEXT) | instid1(SALU_CYCLE_1)
	s_bitset1_b32 s0, 10
	s_mov_b32 m0, s0
	s_sendmsg sendmsg(MSG_INTERRUPT)
	s_mov_b32 m0, ttmp2
.LBB0_472:                              ; =>This Inner Loop Header: Depth=1
	s_sethalt 5
	s_branch .LBB0_472
.LBB0_473:
	s_trap 2
	s_sendmsg_rtn_b32 s0, sendmsg(MSG_RTN_GET_DOORBELL)
	s_mov_b32 ttmp2, m0
	s_waitcnt lgkmcnt(0)
	s_and_b32 s0, s0, 0x3ff
	s_delay_alu instid0(SALU_CYCLE_1) | instskip(NEXT) | instid1(SALU_CYCLE_1)
	s_bitset1_b32 s0, 10
	s_mov_b32 m0, s0
	s_sendmsg sendmsg(MSG_INTERRUPT)
	s_mov_b32 m0, ttmp2
.LBB0_474:                              ; =>This Inner Loop Header: Depth=1
	s_sethalt 5
	s_branch .LBB0_474
.Lfunc_end0:
	.size	_ZN12_GLOBAL__N_17runRingIa7FuncSumIaE7ProtoLLLi0ELi1ELi0EEEviiP15ncclDevWorkColl, .Lfunc_end0-_ZN12_GLOBAL__N_17runRingIa7FuncSumIaE7ProtoLLLi0ELi1ELi0EEEviiP15ncclDevWorkColl
                                        ; -- End function
	.section	.AMDGPU.csdata,"",@progbits
; Function info:
; codeLenInByte = 13952
; NumSgprs: 34
; NumVgprs: 134
; ScratchSize: 0
; MemoryBound: 1
	.text
	.p2align	2                               ; -- Begin function _Z42ncclDevFunc_Broadcast_RING_LL_Sum_i8_0_0_1v
	.type	_Z42ncclDevFunc_Broadcast_RING_LL_Sum_i8_0_0_1v,@function
_Z42ncclDevFunc_Broadcast_RING_LL_Sum_i8_0_0_1v: ; @_Z42ncclDevFunc_Broadcast_RING_LL_Sum_i8_0_0_1v
; %bb.0:
	s_waitcnt vmcnt(0) expcnt(0) lgkmcnt(0)
	s_mov_b32 s0, s33
	s_mov_b32 s33, s32
	s_or_saveexec_b32 s1, -1
	scratch_store_b32 off, v40, s33         ; 4-byte Folded Spill
	s_mov_b32 exec_lo, s1
	v_writelane_b32 v40, s0, 6
	s_add_i32 s32, s32, 16
	v_writelane_b32 v40, s34, 0
	v_writelane_b32 v40, s35, 1
	;; [unrolled: 1-line block ×6, first 2 shown]
	s_cbranch_execnz .LBB1_13
; %bb.1:
	ds_load_b32 v0, v0
	s_waitcnt lgkmcnt(0)
	v_cmp_gt_i32_e32 vcc_lo, 1, v0
	s_cbranch_vccnz .LBB1_12
; %bb.2:
	v_and_b32_e32 v134, 0x3ff, v31
	s_mov_b32 s36, 0
	s_mov_b64 s[34:35], src_shared_base
.LBB1_3:                                ; =>This Inner Loop Header: Depth=1
	s_cbranch_execnz .LBB1_15
; %bb.4:                                ;   in Loop: Header=BB1_3 Depth=1
	ds_load_b32 v0, v0
	s_cmp_eq_u32 s36, 0
	s_cbranch_scc1 .LBB1_8
; %bb.5:                                ;   in Loop: Header=BB1_3 Depth=1
	s_cbranch_execnz .LBB1_19
; %bb.6:                                ;   in Loop: Header=BB1_3 Depth=1
	s_waitcnt lgkmcnt(0)
	ds_load_b32 v1, v0
	s_waitcnt lgkmcnt(0)
	v_xor_b32_e32 v1, v1, v0
	s_delay_alu instid0(VALU_DEP_1) | instskip(NEXT) | instid1(VALU_DEP_1)
	v_and_b32_e32 v1, 0xff0000, v1
	v_cmp_eq_u32_e32 vcc_lo, 0, v1
	s_cbranch_vccnz .LBB1_8
; %bb.7:                                ;   in Loop: Header=BB1_3 Depth=1
	s_waitcnt_vscnt null, 0x0
	s_barrier
	buffer_gl0_inv
	ds_load_b32 v0, v0
.LBB1_8:                                ;   in Loop: Header=BB1_3 Depth=1
	s_waitcnt lgkmcnt(0)
	v_lshrrev_b32_e32 v0, 11, v0
	s_mov_b32 s37, exec_lo
	s_delay_alu instid0(VALU_DEP_1) | instskip(NEXT) | instid1(VALU_DEP_1)
	v_and_b32_e32 v1, 0x1fe0, v0
	v_cmpx_lt_u32_e64 v134, v1
	s_cbranch_execz .LBB1_10
; %bb.9:                                ;   in Loop: Header=BB1_3 Depth=1
	v_dual_mov_b32 v135, v31 :: v_dual_mov_b32 v0, v134
	v_mov_b32_e32 v3, s35
	s_getpc_b64 s[0:1]
	s_add_u32 s0, s0, _ZN12_GLOBAL__N_17runRingIa7FuncSumIaE7ProtoLLLi0ELi1ELi0EEEviiP15ncclDevWorkColl@rel32@lo+4
	s_addc_u32 s1, s1, _ZN12_GLOBAL__N_17runRingIa7FuncSumIaE7ProtoLLLi0ELi1ELi0EEEviiP15ncclDevWorkColl@rel32@hi+12
	s_mov_b64 s[28:29], s[8:9]
	s_mov_b32 s34, s12
	s_swappc_b64 s[30:31], s[0:1]
	v_mov_b32_e32 v31, v135
	s_mov_b32 s12, s34
	s_mov_b64 s[8:9], s[28:29]
.LBB1_10:                               ;   in Loop: Header=BB1_3 Depth=1
	s_or_b32 exec_lo, exec_lo, s37
	s_cbranch_execnz .LBB1_17
; %bb.11:                               ;   in Loop: Header=BB1_3 Depth=1
	ds_load_b32 v0, v0
	s_add_i32 s36, s36, 1
	s_waitcnt lgkmcnt(0)
	v_cmp_lt_i32_e32 vcc_lo, s36, v0
	s_cbranch_vccnz .LBB1_3
.LBB1_12:
	v_readlane_b32 s30, v40, 4
	v_readlane_b32 s31, v40, 5
	;; [unrolled: 1-line block ×7, first 2 shown]
	s_or_saveexec_b32 s1, -1
	scratch_load_b32 v40, off, s33          ; 4-byte Folded Reload
	s_mov_b32 exec_lo, s1
	s_add_i32 s32, s32, -16
	s_mov_b32 s33, s0
	s_waitcnt vmcnt(0)
	s_setpc_b64 s[30:31]
.LBB1_13:
	s_trap 2
	s_sendmsg_rtn_b32 s0, sendmsg(MSG_RTN_GET_DOORBELL)
	s_mov_b32 ttmp2, m0
	s_waitcnt lgkmcnt(0)
	s_and_b32 s0, s0, 0x3ff
	s_delay_alu instid0(SALU_CYCLE_1) | instskip(NEXT) | instid1(SALU_CYCLE_1)
	s_bitset1_b32 s0, 10
	s_mov_b32 m0, s0
	s_sendmsg sendmsg(MSG_INTERRUPT)
	s_mov_b32 m0, ttmp2
.LBB1_14:                               ; =>This Inner Loop Header: Depth=1
	s_sethalt 5
	s_branch .LBB1_14
.LBB1_15:
	s_trap 2
	s_sendmsg_rtn_b32 s0, sendmsg(MSG_RTN_GET_DOORBELL)
	s_mov_b32 ttmp2, m0
	s_waitcnt lgkmcnt(0)
	s_and_b32 s0, s0, 0x3ff
	s_delay_alu instid0(SALU_CYCLE_1) | instskip(NEXT) | instid1(SALU_CYCLE_1)
	s_bitset1_b32 s0, 10
	s_mov_b32 m0, s0
	s_sendmsg sendmsg(MSG_INTERRUPT)
	s_mov_b32 m0, ttmp2
.LBB1_16:                               ; =>This Inner Loop Header: Depth=1
	s_sethalt 5
	s_branch .LBB1_16
.LBB1_17:
	s_trap 2
	s_sendmsg_rtn_b32 s0, sendmsg(MSG_RTN_GET_DOORBELL)
	s_mov_b32 ttmp2, m0
	s_waitcnt lgkmcnt(0)
	s_and_b32 s0, s0, 0x3ff
	s_delay_alu instid0(SALU_CYCLE_1) | instskip(NEXT) | instid1(SALU_CYCLE_1)
	s_bitset1_b32 s0, 10
	s_mov_b32 m0, s0
	s_sendmsg sendmsg(MSG_INTERRUPT)
	s_mov_b32 m0, ttmp2
.LBB1_18:                               ; =>This Inner Loop Header: Depth=1
	s_sethalt 5
	s_branch .LBB1_18
.LBB1_19:
	s_trap 2
	s_sendmsg_rtn_b32 s0, sendmsg(MSG_RTN_GET_DOORBELL)
	s_mov_b32 ttmp2, m0
	s_waitcnt lgkmcnt(0)
	s_and_b32 s0, s0, 0x3ff
	s_delay_alu instid0(SALU_CYCLE_1) | instskip(NEXT) | instid1(SALU_CYCLE_1)
	s_bitset1_b32 s0, 10
	s_mov_b32 m0, s0
	s_sendmsg sendmsg(MSG_INTERRUPT)
	s_mov_b32 m0, ttmp2
.LBB1_20:                               ; =>This Inner Loop Header: Depth=1
	s_sethalt 5
	s_branch .LBB1_20
.Lfunc_end1:
	.size	_Z42ncclDevFunc_Broadcast_RING_LL_Sum_i8_0_0_1v, .Lfunc_end1-_Z42ncclDevFunc_Broadcast_RING_LL_Sum_i8_0_0_1v
                                        ; -- End function
	.section	.AMDGPU.csdata,"",@progbits
; Function info:
; codeLenInByte = 636
; NumSgprs: 40
; NumVgprs: 136
; ScratchSize: 16
; MemoryBound: 0
	.text
	.p2align	2                               ; -- Begin function __ockl_fprintf_append_string_n
	.type	__ockl_fprintf_append_string_n,@function
__ockl_fprintf_append_string_n:         ; @__ockl_fprintf_append_string_n
; %bb.0:
	s_waitcnt vmcnt(0) expcnt(0) lgkmcnt(0)
	v_dual_mov_b32 v8, v3 :: v_dual_mov_b32 v7, v2
	v_or_b32_e32 v2, 2, v0
	v_cmp_eq_u32_e32 vcc_lo, 0, v6
	v_mbcnt_lo_u32_b32 v33, -1, 0
	s_mov_b32 s11, 0
	s_mov_b32 s0, exec_lo
	v_cndmask_b32_e32 v0, v2, v0, vcc_lo
	v_cmpx_ne_u64_e32 0, v[7:8]
	s_xor_b32 s10, exec_lo, s0
	s_cbranch_execz .LBB2_86
; %bb.1:
	s_load_b64 s[2:3], s[8:9], 0x50
	v_dual_mov_b32 v11, 2 :: v_dual_and_b32 v6, 2, v0
	v_mov_b32_e32 v10, 0
	v_and_b32_e32 v0, -3, v0
	v_mov_b32_e32 v12, 1
	s_mov_b32 s12, 0
	s_branch .LBB2_3
.LBB2_2:                                ;   in Loop: Header=BB2_3 Depth=1
	s_or_b32 exec_lo, exec_lo, s1
	v_sub_co_u32 v4, vcc_lo, v4, v29
	v_sub_co_ci_u32_e32 v5, vcc_lo, v5, v30, vcc_lo
	v_add_co_u32 v7, s0, v7, v29
	s_delay_alu instid0(VALU_DEP_1) | instskip(NEXT) | instid1(VALU_DEP_3)
	v_add_co_ci_u32_e64 v8, s0, v8, v30, s0
	v_cmp_eq_u64_e32 vcc_lo, 0, v[4:5]
	s_or_b32 s12, vcc_lo, s12
	s_delay_alu instid0(SALU_CYCLE_1)
	s_and_not1_b32 exec_lo, exec_lo, s12
	s_cbranch_execz .LBB2_85
.LBB2_3:                                ; =>This Loop Header: Depth=1
                                        ;     Child Loop BB2_6 Depth 2
                                        ;     Child Loop BB2_14 Depth 2
	;; [unrolled: 1-line block ×11, first 2 shown]
	v_cmp_gt_u64_e32 vcc_lo, 56, v[4:5]
	s_mov_b32 s1, exec_lo
                                        ; implicit-def: $vgpr2_vgpr3
                                        ; implicit-def: $sgpr4
	v_dual_cndmask_b32 v30, 0, v5 :: v_dual_cndmask_b32 v29, 56, v4
	v_cmpx_gt_u64_e32 8, v[4:5]
	s_xor_b32 s1, exec_lo, s1
	s_cbranch_execz .LBB2_9
; %bb.4:                                ;   in Loop: Header=BB2_3 Depth=1
	s_waitcnt vmcnt(0)
	v_mov_b32_e32 v2, 0
	v_mov_b32_e32 v3, 0
	s_mov_b64 s[4:5], 0
	s_mov_b32 s6, exec_lo
	v_cmpx_ne_u64_e32 0, v[4:5]
	s_cbranch_execz .LBB2_8
; %bb.5:                                ;   in Loop: Header=BB2_3 Depth=1
	v_lshlrev_b64 v[13:14], 3, v[29:30]
	v_dual_mov_b32 v2, 0 :: v_dual_mov_b32 v15, v8
	v_dual_mov_b32 v3, 0 :: v_dual_mov_b32 v14, v7
	s_mov_b32 s7, 0
	.p2align	6
.LBB2_6:                                ;   Parent Loop BB2_3 Depth=1
                                        ; =>  This Inner Loop Header: Depth=2
	flat_load_u8 v9, v[14:15]
	v_mov_b32_e32 v17, s11
	v_add_co_u32 v14, vcc_lo, v14, 1
	v_add_co_ci_u32_e32 v15, vcc_lo, 0, v15, vcc_lo
	s_waitcnt vmcnt(0) lgkmcnt(0)
	v_and_b32_e32 v16, 0xffff, v9
	s_delay_alu instid0(VALU_DEP_1) | instskip(SKIP_3) | instid1(VALU_DEP_2)
	v_lshlrev_b64 v[16:17], s4, v[16:17]
	s_add_u32 s4, s4, 8
	s_addc_u32 s5, s5, 0
	v_cmp_eq_u32_e64 s0, s4, v13
	v_or_b32_e32 v3, v17, v3
	s_delay_alu instid0(VALU_DEP_3) | instskip(NEXT) | instid1(VALU_DEP_3)
	v_or_b32_e32 v2, v16, v2
	s_or_b32 s7, s0, s7
	s_delay_alu instid0(SALU_CYCLE_1)
	s_and_not1_b32 exec_lo, exec_lo, s7
	s_cbranch_execnz .LBB2_6
; %bb.7:                                ;   in Loop: Header=BB2_3 Depth=1
	s_or_b32 exec_lo, exec_lo, s7
.LBB2_8:                                ;   in Loop: Header=BB2_3 Depth=1
	s_delay_alu instid0(SALU_CYCLE_1)
	s_or_b32 exec_lo, exec_lo, s6
	s_mov_b32 s4, 0
.LBB2_9:                                ;   in Loop: Header=BB2_3 Depth=1
	s_or_saveexec_b32 s0, s1
	v_dual_mov_b32 v9, s4 :: v_dual_mov_b32 v26, v8
	v_mov_b32_e32 v25, v7
	s_xor_b32 exec_lo, exec_lo, s0
	s_cbranch_execz .LBB2_11
; %bb.10:                               ;   in Loop: Header=BB2_3 Depth=1
	s_waitcnt vmcnt(0)
	flat_load_b64 v[2:3], v[7:8]
	v_add_co_u32 v25, vcc_lo, v7, 8
	v_add_co_ci_u32_e32 v26, vcc_lo, 0, v8, vcc_lo
	s_waitcnt vmcnt(0) lgkmcnt(0)
	v_and_b32_e32 v9, 0xff, v3
	v_and_b32_e32 v13, 0xff00, v3
	;; [unrolled: 1-line block ×4, first 2 shown]
	v_or3_b32 v2, v2, 0, 0
	s_delay_alu instid0(VALU_DEP_4) | instskip(SKIP_1) | instid1(VALU_DEP_2)
	v_or_b32_e32 v13, v9, v13
	v_add_nc_u32_e32 v9, -8, v29
	v_or3_b32 v3, v13, v14, v3
.LBB2_11:                               ;   in Loop: Header=BB2_3 Depth=1
	s_or_b32 exec_lo, exec_lo, s0
                                        ; implicit-def: $vgpr13_vgpr14
                                        ; implicit-def: $sgpr1
	s_delay_alu instid0(SALU_CYCLE_1) | instskip(NEXT) | instid1(VALU_DEP_2)
	s_mov_b32 s0, exec_lo
	v_cmpx_gt_u32_e32 8, v9
	s_xor_b32 s6, exec_lo, s0
	s_cbranch_execz .LBB2_17
; %bb.12:                               ;   in Loop: Header=BB2_3 Depth=1
	v_mov_b32_e32 v13, 0
	v_mov_b32_e32 v14, 0
	s_mov_b32 s7, exec_lo
	v_cmpx_ne_u32_e32 0, v9
	s_cbranch_execz .LBB2_16
; %bb.13:                               ;   in Loop: Header=BB2_3 Depth=1
	v_mov_b32_e32 v13, 0
	v_mov_b32_e32 v14, 0
	s_mov_b64 s[0:1], 0
	s_mov_b32 s13, 0
	s_mov_b64 s[4:5], 0
	.p2align	6
.LBB2_14:                               ;   Parent Loop BB2_3 Depth=1
                                        ; =>  This Inner Loop Header: Depth=2
	s_delay_alu instid0(SALU_CYCLE_1)
	v_add_co_u32 v15, vcc_lo, v25, s4
	v_add_co_ci_u32_e32 v16, vcc_lo, s5, v26, vcc_lo
	s_add_u32 s4, s4, 1
	s_addc_u32 s5, s5, 0
	v_cmp_eq_u32_e32 vcc_lo, s4, v9
	flat_load_u8 v15, v[15:16]
	s_waitcnt vmcnt(0) lgkmcnt(0)
	v_dual_mov_b32 v16, s11 :: v_dual_and_b32 v15, 0xffff, v15
	s_delay_alu instid0(VALU_DEP_1) | instskip(SKIP_3) | instid1(VALU_DEP_1)
	v_lshlrev_b64 v[15:16], s0, v[15:16]
	s_add_u32 s0, s0, 8
	s_addc_u32 s1, s1, 0
	s_or_b32 s13, vcc_lo, s13
	v_or_b32_e32 v14, v16, v14
	s_delay_alu instid0(VALU_DEP_2)
	v_or_b32_e32 v13, v15, v13
	s_and_not1_b32 exec_lo, exec_lo, s13
	s_cbranch_execnz .LBB2_14
; %bb.15:                               ;   in Loop: Header=BB2_3 Depth=1
	s_or_b32 exec_lo, exec_lo, s13
.LBB2_16:                               ;   in Loop: Header=BB2_3 Depth=1
	s_delay_alu instid0(SALU_CYCLE_1)
	s_or_b32 exec_lo, exec_lo, s7
	s_mov_b32 s1, 0
                                        ; implicit-def: $vgpr9
.LBB2_17:                               ;   in Loop: Header=BB2_3 Depth=1
	s_or_saveexec_b32 s0, s6
	v_mov_b32_e32 v17, s1
	s_xor_b32 exec_lo, exec_lo, s0
	s_cbranch_execz .LBB2_19
; %bb.18:                               ;   in Loop: Header=BB2_3 Depth=1
	flat_load_b64 v[13:14], v[25:26]
	v_add_co_u32 v25, vcc_lo, v25, 8
	v_add_nc_u32_e32 v17, -8, v9
	v_add_co_ci_u32_e32 v26, vcc_lo, 0, v26, vcc_lo
	s_waitcnt vmcnt(0) lgkmcnt(0)
	v_and_b32_e32 v15, 0xff, v14
	v_and_b32_e32 v16, 0xff00, v14
	;; [unrolled: 1-line block ×4, first 2 shown]
	v_or3_b32 v13, v13, 0, 0
	s_delay_alu instid0(VALU_DEP_4) | instskip(NEXT) | instid1(VALU_DEP_1)
	v_or_b32_e32 v15, v15, v16
	v_or3_b32 v14, v15, v18, v14
.LBB2_19:                               ;   in Loop: Header=BB2_3 Depth=1
	s_or_b32 exec_lo, exec_lo, s0
                                        ; implicit-def: $sgpr1
	s_delay_alu instid0(SALU_CYCLE_1)
	s_mov_b32 s0, exec_lo
	v_cmpx_gt_u32_e32 8, v17
	s_xor_b32 s6, exec_lo, s0
	s_cbranch_execz .LBB2_25
; %bb.20:                               ;   in Loop: Header=BB2_3 Depth=1
	v_mov_b32_e32 v15, 0
	v_mov_b32_e32 v16, 0
	s_mov_b32 s7, exec_lo
	v_cmpx_ne_u32_e32 0, v17
	s_cbranch_execz .LBB2_24
; %bb.21:                               ;   in Loop: Header=BB2_3 Depth=1
	v_mov_b32_e32 v15, 0
	v_mov_b32_e32 v16, 0
	s_mov_b64 s[0:1], 0
	s_mov_b32 s13, 0
	s_mov_b64 s[4:5], 0
	.p2align	6
.LBB2_22:                               ;   Parent Loop BB2_3 Depth=1
                                        ; =>  This Inner Loop Header: Depth=2
	s_delay_alu instid0(SALU_CYCLE_1)
	v_add_co_u32 v18, vcc_lo, v25, s4
	v_add_co_ci_u32_e32 v19, vcc_lo, s5, v26, vcc_lo
	s_add_u32 s4, s4, 1
	s_addc_u32 s5, s5, 0
	v_cmp_eq_u32_e32 vcc_lo, s4, v17
	flat_load_u8 v9, v[18:19]
	s_waitcnt vmcnt(0) lgkmcnt(0)
	v_dual_mov_b32 v19, s11 :: v_dual_and_b32 v18, 0xffff, v9
	s_delay_alu instid0(VALU_DEP_1) | instskip(SKIP_3) | instid1(VALU_DEP_1)
	v_lshlrev_b64 v[18:19], s0, v[18:19]
	s_add_u32 s0, s0, 8
	s_addc_u32 s1, s1, 0
	s_or_b32 s13, vcc_lo, s13
	v_or_b32_e32 v16, v19, v16
	s_delay_alu instid0(VALU_DEP_2)
	v_or_b32_e32 v15, v18, v15
	s_and_not1_b32 exec_lo, exec_lo, s13
	s_cbranch_execnz .LBB2_22
; %bb.23:                               ;   in Loop: Header=BB2_3 Depth=1
	s_or_b32 exec_lo, exec_lo, s13
.LBB2_24:                               ;   in Loop: Header=BB2_3 Depth=1
	s_delay_alu instid0(SALU_CYCLE_1)
	s_or_b32 exec_lo, exec_lo, s7
	s_mov_b32 s1, 0
                                        ; implicit-def: $vgpr17
.LBB2_25:                               ;   in Loop: Header=BB2_3 Depth=1
	s_or_saveexec_b32 s0, s6
	v_mov_b32_e32 v9, s1
	s_xor_b32 exec_lo, exec_lo, s0
	s_cbranch_execz .LBB2_27
; %bb.26:                               ;   in Loop: Header=BB2_3 Depth=1
	flat_load_b64 v[15:16], v[25:26]
	v_add_co_u32 v25, vcc_lo, v25, 8
	v_add_co_ci_u32_e32 v26, vcc_lo, 0, v26, vcc_lo
	s_waitcnt vmcnt(0) lgkmcnt(0)
	v_and_b32_e32 v9, 0xff, v16
	v_and_b32_e32 v18, 0xff00, v16
	;; [unrolled: 1-line block ×4, first 2 shown]
	v_or3_b32 v15, v15, 0, 0
	s_delay_alu instid0(VALU_DEP_4) | instskip(SKIP_1) | instid1(VALU_DEP_2)
	v_or_b32_e32 v18, v9, v18
	v_add_nc_u32_e32 v9, -8, v17
	v_or3_b32 v16, v18, v19, v16
.LBB2_27:                               ;   in Loop: Header=BB2_3 Depth=1
	s_or_b32 exec_lo, exec_lo, s0
                                        ; implicit-def: $vgpr17_vgpr18
                                        ; implicit-def: $sgpr1
	s_delay_alu instid0(SALU_CYCLE_1) | instskip(NEXT) | instid1(VALU_DEP_1)
	s_mov_b32 s0, exec_lo
	v_cmpx_gt_u32_e32 8, v9
	s_xor_b32 s6, exec_lo, s0
	s_cbranch_execz .LBB2_33
; %bb.28:                               ;   in Loop: Header=BB2_3 Depth=1
	v_mov_b32_e32 v17, 0
	v_mov_b32_e32 v18, 0
	s_mov_b32 s7, exec_lo
	v_cmpx_ne_u32_e32 0, v9
	s_cbranch_execz .LBB2_32
; %bb.29:                               ;   in Loop: Header=BB2_3 Depth=1
	v_mov_b32_e32 v17, 0
	v_mov_b32_e32 v18, 0
	s_mov_b64 s[0:1], 0
	s_mov_b32 s13, 0
	s_mov_b64 s[4:5], 0
	.p2align	6
.LBB2_30:                               ;   Parent Loop BB2_3 Depth=1
                                        ; =>  This Inner Loop Header: Depth=2
	s_delay_alu instid0(SALU_CYCLE_1)
	v_add_co_u32 v19, vcc_lo, v25, s4
	v_add_co_ci_u32_e32 v20, vcc_lo, s5, v26, vcc_lo
	s_add_u32 s4, s4, 1
	s_addc_u32 s5, s5, 0
	v_cmp_eq_u32_e32 vcc_lo, s4, v9
	flat_load_u8 v19, v[19:20]
	s_waitcnt vmcnt(0) lgkmcnt(0)
	v_dual_mov_b32 v20, s11 :: v_dual_and_b32 v19, 0xffff, v19
	s_delay_alu instid0(VALU_DEP_1) | instskip(SKIP_3) | instid1(VALU_DEP_1)
	v_lshlrev_b64 v[19:20], s0, v[19:20]
	s_add_u32 s0, s0, 8
	s_addc_u32 s1, s1, 0
	s_or_b32 s13, vcc_lo, s13
	v_or_b32_e32 v18, v20, v18
	s_delay_alu instid0(VALU_DEP_2)
	v_or_b32_e32 v17, v19, v17
	s_and_not1_b32 exec_lo, exec_lo, s13
	s_cbranch_execnz .LBB2_30
; %bb.31:                               ;   in Loop: Header=BB2_3 Depth=1
	s_or_b32 exec_lo, exec_lo, s13
.LBB2_32:                               ;   in Loop: Header=BB2_3 Depth=1
	s_delay_alu instid0(SALU_CYCLE_1)
	s_or_b32 exec_lo, exec_lo, s7
	s_mov_b32 s1, 0
                                        ; implicit-def: $vgpr9
.LBB2_33:                               ;   in Loop: Header=BB2_3 Depth=1
	s_or_saveexec_b32 s0, s6
	v_mov_b32_e32 v21, s1
	s_xor_b32 exec_lo, exec_lo, s0
	s_cbranch_execz .LBB2_35
; %bb.34:                               ;   in Loop: Header=BB2_3 Depth=1
	flat_load_b64 v[17:18], v[25:26]
	v_add_co_u32 v25, vcc_lo, v25, 8
	v_add_nc_u32_e32 v21, -8, v9
	v_add_co_ci_u32_e32 v26, vcc_lo, 0, v26, vcc_lo
	s_waitcnt vmcnt(0) lgkmcnt(0)
	v_and_b32_e32 v19, 0xff, v18
	v_and_b32_e32 v20, 0xff00, v18
	;; [unrolled: 1-line block ×4, first 2 shown]
	v_or3_b32 v17, v17, 0, 0
	s_delay_alu instid0(VALU_DEP_4) | instskip(NEXT) | instid1(VALU_DEP_1)
	v_or_b32_e32 v19, v19, v20
	v_or3_b32 v18, v19, v22, v18
.LBB2_35:                               ;   in Loop: Header=BB2_3 Depth=1
	s_or_b32 exec_lo, exec_lo, s0
                                        ; implicit-def: $sgpr1
	s_delay_alu instid0(SALU_CYCLE_1)
	s_mov_b32 s0, exec_lo
	v_cmpx_gt_u32_e32 8, v21
	s_xor_b32 s6, exec_lo, s0
	s_cbranch_execz .LBB2_41
; %bb.36:                               ;   in Loop: Header=BB2_3 Depth=1
	v_mov_b32_e32 v19, 0
	v_mov_b32_e32 v20, 0
	s_mov_b32 s7, exec_lo
	v_cmpx_ne_u32_e32 0, v21
	s_cbranch_execz .LBB2_40
; %bb.37:                               ;   in Loop: Header=BB2_3 Depth=1
	v_mov_b32_e32 v19, 0
	v_mov_b32_e32 v20, 0
	s_mov_b64 s[0:1], 0
	s_mov_b32 s13, 0
	s_mov_b64 s[4:5], 0
	.p2align	6
.LBB2_38:                               ;   Parent Loop BB2_3 Depth=1
                                        ; =>  This Inner Loop Header: Depth=2
	s_delay_alu instid0(SALU_CYCLE_1)
	v_add_co_u32 v22, vcc_lo, v25, s4
	v_add_co_ci_u32_e32 v23, vcc_lo, s5, v26, vcc_lo
	s_add_u32 s4, s4, 1
	s_addc_u32 s5, s5, 0
	v_cmp_eq_u32_e32 vcc_lo, s4, v21
	flat_load_u8 v9, v[22:23]
	s_waitcnt vmcnt(0) lgkmcnt(0)
	v_dual_mov_b32 v23, s11 :: v_dual_and_b32 v22, 0xffff, v9
	s_delay_alu instid0(VALU_DEP_1) | instskip(SKIP_3) | instid1(VALU_DEP_1)
	v_lshlrev_b64 v[22:23], s0, v[22:23]
	s_add_u32 s0, s0, 8
	s_addc_u32 s1, s1, 0
	s_or_b32 s13, vcc_lo, s13
	v_or_b32_e32 v20, v23, v20
	s_delay_alu instid0(VALU_DEP_2)
	v_or_b32_e32 v19, v22, v19
	s_and_not1_b32 exec_lo, exec_lo, s13
	s_cbranch_execnz .LBB2_38
; %bb.39:                               ;   in Loop: Header=BB2_3 Depth=1
	s_or_b32 exec_lo, exec_lo, s13
.LBB2_40:                               ;   in Loop: Header=BB2_3 Depth=1
	s_delay_alu instid0(SALU_CYCLE_1)
	s_or_b32 exec_lo, exec_lo, s7
	s_mov_b32 s1, 0
                                        ; implicit-def: $vgpr21
.LBB2_41:                               ;   in Loop: Header=BB2_3 Depth=1
	s_or_saveexec_b32 s0, s6
	v_mov_b32_e32 v9, s1
	s_xor_b32 exec_lo, exec_lo, s0
	s_cbranch_execz .LBB2_43
; %bb.42:                               ;   in Loop: Header=BB2_3 Depth=1
	flat_load_b64 v[19:20], v[25:26]
	v_add_co_u32 v25, vcc_lo, v25, 8
	v_add_co_ci_u32_e32 v26, vcc_lo, 0, v26, vcc_lo
	s_waitcnt vmcnt(0) lgkmcnt(0)
	v_and_b32_e32 v9, 0xff, v20
	v_and_b32_e32 v22, 0xff00, v20
	;; [unrolled: 1-line block ×4, first 2 shown]
	v_or3_b32 v19, v19, 0, 0
	s_delay_alu instid0(VALU_DEP_4) | instskip(SKIP_1) | instid1(VALU_DEP_2)
	v_or_b32_e32 v22, v9, v22
	v_add_nc_u32_e32 v9, -8, v21
	v_or3_b32 v20, v22, v23, v20
.LBB2_43:                               ;   in Loop: Header=BB2_3 Depth=1
	s_or_b32 exec_lo, exec_lo, s0
                                        ; implicit-def: $vgpr21_vgpr22
                                        ; implicit-def: $sgpr1
	s_delay_alu instid0(SALU_CYCLE_1) | instskip(NEXT) | instid1(VALU_DEP_1)
	s_mov_b32 s0, exec_lo
	v_cmpx_gt_u32_e32 8, v9
	s_xor_b32 s6, exec_lo, s0
	s_cbranch_execz .LBB2_49
; %bb.44:                               ;   in Loop: Header=BB2_3 Depth=1
	v_mov_b32_e32 v21, 0
	v_mov_b32_e32 v22, 0
	s_mov_b32 s7, exec_lo
	v_cmpx_ne_u32_e32 0, v9
	s_cbranch_execz .LBB2_48
; %bb.45:                               ;   in Loop: Header=BB2_3 Depth=1
	v_mov_b32_e32 v21, 0
	v_mov_b32_e32 v22, 0
	s_mov_b64 s[0:1], 0
	s_mov_b32 s13, 0
	s_mov_b64 s[4:5], 0
	.p2align	6
.LBB2_46:                               ;   Parent Loop BB2_3 Depth=1
                                        ; =>  This Inner Loop Header: Depth=2
	s_delay_alu instid0(SALU_CYCLE_1)
	v_add_co_u32 v23, vcc_lo, v25, s4
	v_add_co_ci_u32_e32 v24, vcc_lo, s5, v26, vcc_lo
	s_add_u32 s4, s4, 1
	s_addc_u32 s5, s5, 0
	v_cmp_eq_u32_e32 vcc_lo, s4, v9
	flat_load_u8 v23, v[23:24]
	s_waitcnt vmcnt(0) lgkmcnt(0)
	v_dual_mov_b32 v24, s11 :: v_dual_and_b32 v23, 0xffff, v23
	s_delay_alu instid0(VALU_DEP_1) | instskip(SKIP_3) | instid1(VALU_DEP_1)
	v_lshlrev_b64 v[23:24], s0, v[23:24]
	s_add_u32 s0, s0, 8
	s_addc_u32 s1, s1, 0
	s_or_b32 s13, vcc_lo, s13
	v_or_b32_e32 v22, v24, v22
	s_delay_alu instid0(VALU_DEP_2)
	v_or_b32_e32 v21, v23, v21
	s_and_not1_b32 exec_lo, exec_lo, s13
	s_cbranch_execnz .LBB2_46
; %bb.47:                               ;   in Loop: Header=BB2_3 Depth=1
	s_or_b32 exec_lo, exec_lo, s13
.LBB2_48:                               ;   in Loop: Header=BB2_3 Depth=1
	s_delay_alu instid0(SALU_CYCLE_1)
	s_or_b32 exec_lo, exec_lo, s7
	s_mov_b32 s1, 0
                                        ; implicit-def: $vgpr9
.LBB2_49:                               ;   in Loop: Header=BB2_3 Depth=1
	s_or_saveexec_b32 s0, s6
	v_mov_b32_e32 v27, s1
	s_xor_b32 exec_lo, exec_lo, s0
	s_cbranch_execz .LBB2_51
; %bb.50:                               ;   in Loop: Header=BB2_3 Depth=1
	flat_load_b64 v[21:22], v[25:26]
	v_add_co_u32 v25, vcc_lo, v25, 8
	v_add_nc_u32_e32 v27, -8, v9
	v_add_co_ci_u32_e32 v26, vcc_lo, 0, v26, vcc_lo
	s_waitcnt vmcnt(0) lgkmcnt(0)
	v_and_b32_e32 v23, 0xff, v22
	v_and_b32_e32 v24, 0xff00, v22
	;; [unrolled: 1-line block ×4, first 2 shown]
	v_or3_b32 v21, v21, 0, 0
	s_delay_alu instid0(VALU_DEP_4) | instskip(NEXT) | instid1(VALU_DEP_1)
	v_or_b32_e32 v23, v23, v24
	v_or3_b32 v22, v23, v28, v22
.LBB2_51:                               ;   in Loop: Header=BB2_3 Depth=1
	s_or_b32 exec_lo, exec_lo, s0
	s_delay_alu instid0(SALU_CYCLE_1)
	s_mov_b32 s0, exec_lo
	v_cmpx_gt_u32_e32 8, v27
	s_xor_b32 s4, exec_lo, s0
	s_cbranch_execz .LBB2_57
; %bb.52:                               ;   in Loop: Header=BB2_3 Depth=1
	v_mov_b32_e32 v23, 0
	v_mov_b32_e32 v24, 0
	s_mov_b32 s5, exec_lo
	v_cmpx_ne_u32_e32 0, v27
	s_cbranch_execz .LBB2_56
; %bb.53:                               ;   in Loop: Header=BB2_3 Depth=1
	v_mov_b32_e32 v23, 0
	v_mov_b32_e32 v24, 0
	s_mov_b64 s[0:1], 0
	s_mov_b32 s6, 0
	.p2align	6
.LBB2_54:                               ;   Parent Loop BB2_3 Depth=1
                                        ; =>  This Inner Loop Header: Depth=2
	flat_load_u8 v9, v[25:26]
	v_dual_mov_b32 v32, s11 :: v_dual_add_nc_u32 v27, -1, v27
	v_add_co_u32 v25, vcc_lo, v25, 1
	v_add_co_ci_u32_e32 v26, vcc_lo, 0, v26, vcc_lo
	s_delay_alu instid0(VALU_DEP_3) | instskip(SKIP_2) | instid1(VALU_DEP_1)
	v_cmp_eq_u32_e32 vcc_lo, 0, v27
	s_waitcnt vmcnt(0) lgkmcnt(0)
	v_and_b32_e32 v31, 0xffff, v9
	v_lshlrev_b64 v[31:32], s0, v[31:32]
	s_add_u32 s0, s0, 8
	s_addc_u32 s1, s1, 0
	s_or_b32 s6, vcc_lo, s6
	s_delay_alu instid0(VALU_DEP_1) | instskip(NEXT) | instid1(VALU_DEP_2)
	v_or_b32_e32 v24, v32, v24
	v_or_b32_e32 v23, v31, v23
	s_and_not1_b32 exec_lo, exec_lo, s6
	s_cbranch_execnz .LBB2_54
; %bb.55:                               ;   in Loop: Header=BB2_3 Depth=1
	s_or_b32 exec_lo, exec_lo, s6
.LBB2_56:                               ;   in Loop: Header=BB2_3 Depth=1
	s_delay_alu instid0(SALU_CYCLE_1)
	s_or_b32 exec_lo, exec_lo, s5
                                        ; implicit-def: $vgpr25_vgpr26
.LBB2_57:                               ;   in Loop: Header=BB2_3 Depth=1
	s_and_not1_saveexec_b32 s0, s4
	s_cbranch_execz .LBB2_59
; %bb.58:                               ;   in Loop: Header=BB2_3 Depth=1
	flat_load_b64 v[23:24], v[25:26]
	s_waitcnt vmcnt(0) lgkmcnt(0)
	v_and_b32_e32 v9, 0xff, v24
	v_and_b32_e32 v25, 0xff00, v24
	;; [unrolled: 1-line block ×4, first 2 shown]
	v_or3_b32 v23, v23, 0, 0
	s_delay_alu instid0(VALU_DEP_4) | instskip(NEXT) | instid1(VALU_DEP_1)
	v_or_b32_e32 v9, v9, v25
	v_or3_b32 v24, v9, v26, v24
.LBB2_59:                               ;   in Loop: Header=BB2_3 Depth=1
	s_or_b32 exec_lo, exec_lo, s0
	v_readfirstlane_b32 s0, v33
	v_mov_b32_e32 v31, 0
	v_mov_b32_e32 v32, 0
	s_delay_alu instid0(VALU_DEP_3) | instskip(NEXT) | instid1(VALU_DEP_1)
	v_cmp_eq_u32_e64 s0, s0, v33
	s_and_saveexec_b32 s1, s0
	s_cbranch_execz .LBB2_65
; %bb.60:                               ;   in Loop: Header=BB2_3 Depth=1
	s_waitcnt lgkmcnt(0)
	global_load_b64 v[27:28], v10, s[2:3] offset:24 glc
	s_waitcnt vmcnt(0)
	buffer_gl1_inv
	buffer_gl0_inv
	s_clause 0x1
	global_load_b64 v[25:26], v10, s[2:3] offset:40
	global_load_b64 v[31:32], v10, s[2:3]
	s_mov_b32 s4, exec_lo
	s_waitcnt vmcnt(1)
	v_and_b32_e32 v9, v26, v28
	v_and_b32_e32 v25, v25, v27
	s_delay_alu instid0(VALU_DEP_2) | instskip(NEXT) | instid1(VALU_DEP_2)
	v_mul_lo_u32 v9, v9, 24
	v_mul_hi_u32 v26, v25, 24
	v_mul_lo_u32 v25, v25, 24
	s_delay_alu instid0(VALU_DEP_2) | instskip(SKIP_1) | instid1(VALU_DEP_2)
	v_add_nc_u32_e32 v9, v26, v9
	s_waitcnt vmcnt(0)
	v_add_co_u32 v25, vcc_lo, v31, v25
	s_delay_alu instid0(VALU_DEP_2)
	v_add_co_ci_u32_e32 v26, vcc_lo, v32, v9, vcc_lo
	global_load_b64 v[25:26], v[25:26], off glc
	s_waitcnt vmcnt(0)
	global_atomic_cmpswap_b64 v[31:32], v10, v[25:28], s[2:3] offset:24 glc
	s_waitcnt vmcnt(0)
	buffer_gl1_inv
	buffer_gl0_inv
	v_cmpx_ne_u64_e64 v[31:32], v[27:28]
	s_cbranch_execz .LBB2_64
; %bb.61:                               ;   in Loop: Header=BB2_3 Depth=1
	s_mov_b32 s5, 0
	.p2align	6
.LBB2_62:                               ;   Parent Loop BB2_3 Depth=1
                                        ; =>  This Inner Loop Header: Depth=2
	s_sleep 1
	s_clause 0x1
	global_load_b64 v[25:26], v10, s[2:3] offset:40
	global_load_b64 v[34:35], v10, s[2:3]
	v_dual_mov_b32 v27, v31 :: v_dual_mov_b32 v28, v32
	s_waitcnt vmcnt(1)
	s_delay_alu instid0(VALU_DEP_1) | instskip(SKIP_1) | instid1(VALU_DEP_1)
	v_and_b32_e32 v9, v25, v27
	s_waitcnt vmcnt(0)
	v_mad_u64_u32 v[31:32], null, v9, 24, v[34:35]
	s_delay_alu instid0(VALU_DEP_1) | instskip(NEXT) | instid1(VALU_DEP_1)
	v_dual_mov_b32 v9, v32 :: v_dual_and_b32 v34, v26, v28
	v_mad_u64_u32 v[25:26], null, v34, 24, v[9:10]
	s_delay_alu instid0(VALU_DEP_1)
	v_mov_b32_e32 v32, v25
	global_load_b64 v[25:26], v[31:32], off glc
	s_waitcnt vmcnt(0)
	global_atomic_cmpswap_b64 v[31:32], v10, v[25:28], s[2:3] offset:24 glc
	s_waitcnt vmcnt(0)
	buffer_gl1_inv
	buffer_gl0_inv
	v_cmp_eq_u64_e32 vcc_lo, v[31:32], v[27:28]
	s_or_b32 s5, vcc_lo, s5
	s_delay_alu instid0(SALU_CYCLE_1)
	s_and_not1_b32 exec_lo, exec_lo, s5
	s_cbranch_execnz .LBB2_62
; %bb.63:                               ;   in Loop: Header=BB2_3 Depth=1
	s_or_b32 exec_lo, exec_lo, s5
.LBB2_64:                               ;   in Loop: Header=BB2_3 Depth=1
	s_delay_alu instid0(SALU_CYCLE_1)
	s_or_b32 exec_lo, exec_lo, s4
.LBB2_65:                               ;   in Loop: Header=BB2_3 Depth=1
	s_delay_alu instid0(SALU_CYCLE_1)
	s_or_b32 exec_lo, exec_lo, s1
	s_waitcnt lgkmcnt(0)
	s_clause 0x1
	global_load_b64 v[34:35], v10, s[2:3] offset:40
	global_load_b128 v[25:28], v10, s[2:3]
	v_readfirstlane_b32 s4, v31
	v_readfirstlane_b32 s5, v32
	s_mov_b32 s1, exec_lo
	s_waitcnt vmcnt(1)
	v_readfirstlane_b32 s6, v34
	v_readfirstlane_b32 s7, v35
	s_delay_alu instid0(VALU_DEP_1) | instskip(NEXT) | instid1(SALU_CYCLE_1)
	s_and_b64 s[6:7], s[4:5], s[6:7]
	s_mul_i32 s13, s7, 24
	s_mul_hi_u32 s14, s6, 24
	s_mul_i32 s15, s6, 24
	s_add_i32 s14, s14, s13
	s_waitcnt vmcnt(0)
	v_add_co_u32 v31, vcc_lo, v25, s15
	v_add_co_ci_u32_e32 v32, vcc_lo, s14, v26, vcc_lo
	s_and_saveexec_b32 s13, s0
	s_cbranch_execz .LBB2_67
; %bb.66:                               ;   in Loop: Header=BB2_3 Depth=1
	v_mov_b32_e32 v9, s1
	global_store_b128 v[31:32], v[9:12], off offset:8
.LBB2_67:                               ;   in Loop: Header=BB2_3 Depth=1
	s_or_b32 exec_lo, exec_lo, s13
	v_cmp_lt_u64_e32 vcc_lo, 56, v[4:5]
	v_or_b32_e32 v9, 0, v1
	v_or_b32_e32 v34, v0, v6
	v_lshl_add_u32 v35, v29, 2, 28
	s_lshl_b64 s[6:7], s[6:7], 12
	s_delay_alu instid0(SALU_CYCLE_1) | instskip(NEXT) | instid1(VALU_DEP_1)
	v_add_co_u32 v27, s1, v27, s6
	v_add_co_ci_u32_e64 v28, s1, s7, v28, s1
	v_dual_cndmask_b32 v1, v9, v1 :: v_dual_cndmask_b32 v0, v34, v0
	v_and_b32_e32 v9, 0x1e0, v35
	v_lshlrev_b32_e32 v34, 6, v33
	v_readfirstlane_b32 s6, v27
	v_readfirstlane_b32 s7, v28
	s_delay_alu instid0(VALU_DEP_4)
	v_and_or_b32 v0, 0xffffff1f, v0, v9
	s_clause 0x3
	global_store_b128 v34, v[0:3], s[6:7]
	global_store_b128 v34, v[13:16], s[6:7] offset:16
	global_store_b128 v34, v[17:20], s[6:7] offset:32
	;; [unrolled: 1-line block ×3, first 2 shown]
	s_and_saveexec_b32 s1, s0
	s_cbranch_execz .LBB2_75
; %bb.68:                               ;   in Loop: Header=BB2_3 Depth=1
	s_clause 0x1
	global_load_b64 v[17:18], v10, s[2:3] offset:32 glc
	global_load_b64 v[0:1], v10, s[2:3] offset:40
	v_dual_mov_b32 v15, s4 :: v_dual_mov_b32 v16, s5
	s_waitcnt vmcnt(0)
	v_readfirstlane_b32 s6, v0
	v_readfirstlane_b32 s7, v1
	s_delay_alu instid0(VALU_DEP_1) | instskip(NEXT) | instid1(SALU_CYCLE_1)
	s_and_b64 s[6:7], s[6:7], s[4:5]
	s_mul_i32 s7, s7, 24
	s_mul_hi_u32 s13, s6, 24
	s_mul_i32 s6, s6, 24
	s_add_i32 s13, s13, s7
	v_add_co_u32 v13, vcc_lo, v25, s6
	v_add_co_ci_u32_e32 v14, vcc_lo, s13, v26, vcc_lo
	s_mov_b32 s6, exec_lo
	global_store_b64 v[13:14], v[17:18], off
	s_waitcnt_vscnt null, 0x0
	global_atomic_cmpswap_b64 v[2:3], v10, v[15:18], s[2:3] offset:32 glc
	s_waitcnt vmcnt(0)
	v_cmpx_ne_u64_e64 v[2:3], v[17:18]
	s_cbranch_execz .LBB2_71
; %bb.69:                               ;   in Loop: Header=BB2_3 Depth=1
	s_mov_b32 s7, 0
.LBB2_70:                               ;   Parent Loop BB2_3 Depth=1
                                        ; =>  This Inner Loop Header: Depth=2
	v_dual_mov_b32 v0, s4 :: v_dual_mov_b32 v1, s5
	s_sleep 1
	global_store_b64 v[13:14], v[2:3], off
	s_waitcnt_vscnt null, 0x0
	global_atomic_cmpswap_b64 v[0:1], v10, v[0:3], s[2:3] offset:32 glc
	s_waitcnt vmcnt(0)
	v_cmp_eq_u64_e32 vcc_lo, v[0:1], v[2:3]
	v_dual_mov_b32 v3, v1 :: v_dual_mov_b32 v2, v0
	s_or_b32 s7, vcc_lo, s7
	s_delay_alu instid0(SALU_CYCLE_1)
	s_and_not1_b32 exec_lo, exec_lo, s7
	s_cbranch_execnz .LBB2_70
.LBB2_71:                               ;   in Loop: Header=BB2_3 Depth=1
	s_or_b32 exec_lo, exec_lo, s6
	global_load_b64 v[0:1], v10, s[2:3] offset:16
	s_mov_b32 s7, exec_lo
	s_mov_b32 s6, exec_lo
	v_mbcnt_lo_u32_b32 v2, s7, 0
	s_delay_alu instid0(VALU_DEP_1)
	v_cmpx_eq_u32_e32 0, v2
	s_cbranch_execz .LBB2_73
; %bb.72:                               ;   in Loop: Header=BB2_3 Depth=1
	s_bcnt1_i32_b32 s7, s7
	s_delay_alu instid0(SALU_CYCLE_1)
	v_mov_b32_e32 v9, s7
	s_waitcnt vmcnt(0)
	global_atomic_add_u64 v[0:1], v[9:10], off offset:8
.LBB2_73:                               ;   in Loop: Header=BB2_3 Depth=1
	s_or_b32 exec_lo, exec_lo, s6
	s_waitcnt vmcnt(0)
	global_load_b64 v[2:3], v[0:1], off offset:16
	s_waitcnt vmcnt(0)
	v_cmp_eq_u64_e32 vcc_lo, 0, v[2:3]
	s_cbranch_vccnz .LBB2_75
; %bb.74:                               ;   in Loop: Header=BB2_3 Depth=1
	global_load_b32 v9, v[0:1], off offset:24
	s_waitcnt vmcnt(0)
	v_and_b32_e32 v0, 0xffffff, v9
	s_waitcnt_vscnt null, 0x0
	global_store_b64 v[2:3], v[9:10], off
	v_readfirstlane_b32 m0, v0
	s_sendmsg sendmsg(MSG_INTERRUPT)
.LBB2_75:                               ;   in Loop: Header=BB2_3 Depth=1
	s_or_b32 exec_lo, exec_lo, s1
	v_add_co_u32 v0, vcc_lo, v27, v34
	v_add_co_ci_u32_e32 v1, vcc_lo, 0, v28, vcc_lo
	s_branch .LBB2_79
	.p2align	6
.LBB2_76:                               ;   in Loop: Header=BB2_79 Depth=2
	s_or_b32 exec_lo, exec_lo, s1
	s_delay_alu instid0(VALU_DEP_1) | instskip(NEXT) | instid1(VALU_DEP_1)
	v_readfirstlane_b32 s1, v2
	s_cmp_eq_u32 s1, 0
	s_cbranch_scc1 .LBB2_78
; %bb.77:                               ;   in Loop: Header=BB2_79 Depth=2
	s_sleep 1
	s_cbranch_execnz .LBB2_79
	s_branch .LBB2_81
	.p2align	6
.LBB2_78:                               ;   in Loop: Header=BB2_3 Depth=1
	s_branch .LBB2_81
.LBB2_79:                               ;   Parent Loop BB2_3 Depth=1
                                        ; =>  This Inner Loop Header: Depth=2
	v_mov_b32_e32 v2, 1
	s_and_saveexec_b32 s1, s0
	s_cbranch_execz .LBB2_76
; %bb.80:                               ;   in Loop: Header=BB2_79 Depth=2
	global_load_b32 v2, v[31:32], off offset:20 glc
	s_waitcnt vmcnt(0)
	buffer_gl1_inv
	buffer_gl0_inv
	v_and_b32_e32 v2, 1, v2
	s_branch .LBB2_76
.LBB2_81:                               ;   in Loop: Header=BB2_3 Depth=1
	global_load_b128 v[0:3], v[0:1], off
	s_and_saveexec_b32 s1, s0
	s_cbranch_execz .LBB2_2
; %bb.82:                               ;   in Loop: Header=BB2_3 Depth=1
	s_clause 0x2
	global_load_b64 v[2:3], v10, s[2:3] offset:40
	global_load_b64 v[17:18], v10, s[2:3] offset:24 glc
	global_load_b64 v[15:16], v10, s[2:3]
	s_waitcnt vmcnt(2)
	v_add_co_u32 v9, vcc_lo, v2, 1
	v_add_co_ci_u32_e32 v19, vcc_lo, 0, v3, vcc_lo
	s_delay_alu instid0(VALU_DEP_2) | instskip(NEXT) | instid1(VALU_DEP_2)
	v_add_co_u32 v13, vcc_lo, v9, s4
	v_add_co_ci_u32_e32 v14, vcc_lo, s5, v19, vcc_lo
	s_delay_alu instid0(VALU_DEP_1) | instskip(SKIP_1) | instid1(VALU_DEP_1)
	v_cmp_eq_u64_e32 vcc_lo, 0, v[13:14]
	v_dual_cndmask_b32 v14, v14, v19 :: v_dual_cndmask_b32 v13, v13, v9
	v_and_b32_e32 v3, v14, v3
	s_delay_alu instid0(VALU_DEP_2) | instskip(NEXT) | instid1(VALU_DEP_2)
	v_and_b32_e32 v2, v13, v2
	v_mul_lo_u32 v3, v3, 24
	s_delay_alu instid0(VALU_DEP_2) | instskip(SKIP_1) | instid1(VALU_DEP_2)
	v_mul_hi_u32 v9, v2, 24
	v_mul_lo_u32 v2, v2, 24
	v_add_nc_u32_e32 v3, v9, v3
	s_waitcnt vmcnt(0)
	s_delay_alu instid0(VALU_DEP_2) | instskip(SKIP_1) | instid1(VALU_DEP_3)
	v_add_co_u32 v2, vcc_lo, v15, v2
	v_mov_b32_e32 v15, v17
	v_add_co_ci_u32_e32 v3, vcc_lo, v16, v3, vcc_lo
	v_mov_b32_e32 v16, v18
	global_store_b64 v[2:3], v[17:18], off
	s_waitcnt_vscnt null, 0x0
	global_atomic_cmpswap_b64 v[15:16], v10, v[13:16], s[2:3] offset:24 glc
	s_waitcnt vmcnt(0)
	v_cmp_ne_u64_e32 vcc_lo, v[15:16], v[17:18]
	s_and_b32 exec_lo, exec_lo, vcc_lo
	s_cbranch_execz .LBB2_2
; %bb.83:                               ;   in Loop: Header=BB2_3 Depth=1
	s_mov_b32 s0, 0
.LBB2_84:                               ;   Parent Loop BB2_3 Depth=1
                                        ; =>  This Inner Loop Header: Depth=2
	s_sleep 1
	global_store_b64 v[2:3], v[15:16], off
	s_waitcnt_vscnt null, 0x0
	global_atomic_cmpswap_b64 v[17:18], v10, v[13:16], s[2:3] offset:24 glc
	s_waitcnt vmcnt(0)
	v_cmp_eq_u64_e32 vcc_lo, v[17:18], v[15:16]
	v_dual_mov_b32 v15, v17 :: v_dual_mov_b32 v16, v18
	s_or_b32 s0, vcc_lo, s0
	s_delay_alu instid0(SALU_CYCLE_1)
	s_and_not1_b32 exec_lo, exec_lo, s0
	s_cbranch_execnz .LBB2_84
	s_branch .LBB2_2
.LBB2_85:
	s_or_b32 exec_lo, exec_lo, s12
                                        ; implicit-def: $vgpr0
                                        ; implicit-def: $vgpr33
                                        ; implicit-def: $vgpr1
.LBB2_86:
	s_and_not1_saveexec_b32 s1, s10
	s_cbranch_execz .LBB2_108
; %bb.87:
	s_load_b64 s[2:3], s[8:9], 0x50
	v_readfirstlane_b32 s0, v33
	v_mov_b32_e32 v8, 0
	v_mov_b32_e32 v9, 0
	s_delay_alu instid0(VALU_DEP_3) | instskip(NEXT) | instid1(VALU_DEP_1)
	v_cmp_eq_u32_e64 s0, s0, v33
	s_and_saveexec_b32 s4, s0
	s_cbranch_execz .LBB2_93
; %bb.88:
	s_waitcnt vmcnt(0)
	v_mov_b32_e32 v2, 0
	s_mov_b32 s5, exec_lo
	s_waitcnt lgkmcnt(0)
	global_load_b64 v[5:6], v2, s[2:3] offset:24 glc
	s_waitcnt vmcnt(0)
	buffer_gl1_inv
	buffer_gl0_inv
	s_clause 0x1
	global_load_b64 v[3:4], v2, s[2:3] offset:40
	global_load_b64 v[7:8], v2, s[2:3]
	s_waitcnt vmcnt(1)
	v_and_b32_e32 v3, v3, v5
	v_and_b32_e32 v4, v4, v6
	s_delay_alu instid0(VALU_DEP_2) | instskip(NEXT) | instid1(VALU_DEP_2)
	v_mul_hi_u32 v9, v3, 24
	v_mul_lo_u32 v4, v4, 24
	v_mul_lo_u32 v3, v3, 24
	s_delay_alu instid0(VALU_DEP_2) | instskip(SKIP_1) | instid1(VALU_DEP_2)
	v_add_nc_u32_e32 v4, v9, v4
	s_waitcnt vmcnt(0)
	v_add_co_u32 v3, vcc_lo, v7, v3
	s_delay_alu instid0(VALU_DEP_2)
	v_add_co_ci_u32_e32 v4, vcc_lo, v8, v4, vcc_lo
	global_load_b64 v[3:4], v[3:4], off glc
	s_waitcnt vmcnt(0)
	global_atomic_cmpswap_b64 v[8:9], v2, v[3:6], s[2:3] offset:24 glc
	s_waitcnt vmcnt(0)
	buffer_gl1_inv
	buffer_gl0_inv
	v_cmpx_ne_u64_e64 v[8:9], v[5:6]
	s_cbranch_execz .LBB2_92
; %bb.89:
	s_mov_b32 s6, 0
	.p2align	6
.LBB2_90:                               ; =>This Inner Loop Header: Depth=1
	s_sleep 1
	s_clause 0x1
	global_load_b64 v[3:4], v2, s[2:3] offset:40
	global_load_b64 v[10:11], v2, s[2:3]
	v_dual_mov_b32 v5, v8 :: v_dual_mov_b32 v6, v9
	s_waitcnt vmcnt(1)
	s_delay_alu instid0(VALU_DEP_1) | instskip(NEXT) | instid1(VALU_DEP_2)
	v_and_b32_e32 v3, v3, v5
	v_and_b32_e32 v4, v4, v6
	s_waitcnt vmcnt(0)
	s_delay_alu instid0(VALU_DEP_2) | instskip(NEXT) | instid1(VALU_DEP_1)
	v_mad_u64_u32 v[7:8], null, v3, 24, v[10:11]
	v_mov_b32_e32 v3, v8
	s_delay_alu instid0(VALU_DEP_1)
	v_mad_u64_u32 v[8:9], null, v4, 24, v[3:4]
	global_load_b64 v[3:4], v[7:8], off glc
	s_waitcnt vmcnt(0)
	global_atomic_cmpswap_b64 v[8:9], v2, v[3:6], s[2:3] offset:24 glc
	s_waitcnt vmcnt(0)
	buffer_gl1_inv
	buffer_gl0_inv
	v_cmp_eq_u64_e32 vcc_lo, v[8:9], v[5:6]
	s_or_b32 s6, vcc_lo, s6
	s_delay_alu instid0(SALU_CYCLE_1)
	s_and_not1_b32 exec_lo, exec_lo, s6
	s_cbranch_execnz .LBB2_90
; %bb.91:
	s_or_b32 exec_lo, exec_lo, s6
.LBB2_92:
	s_delay_alu instid0(SALU_CYCLE_1)
	s_or_b32 exec_lo, exec_lo, s5
.LBB2_93:
	s_delay_alu instid0(SALU_CYCLE_1)
	s_or_b32 exec_lo, exec_lo, s4
	s_waitcnt vmcnt(0)
	v_mov_b32_e32 v2, 0
	v_readfirstlane_b32 s4, v8
	v_readfirstlane_b32 s5, v9
	s_mov_b32 s8, exec_lo
	s_waitcnt lgkmcnt(0)
	s_clause 0x1
	global_load_b64 v[10:11], v2, s[2:3] offset:40
	global_load_b128 v[4:7], v2, s[2:3]
	s_waitcnt vmcnt(1)
	v_readfirstlane_b32 s6, v10
	v_readfirstlane_b32 s7, v11
	s_delay_alu instid0(VALU_DEP_1) | instskip(NEXT) | instid1(SALU_CYCLE_1)
	s_and_b64 s[6:7], s[4:5], s[6:7]
	s_mul_i32 s9, s7, 24
	s_mul_hi_u32 s10, s6, 24
	s_mul_i32 s11, s6, 24
	s_add_i32 s10, s10, s9
	s_waitcnt vmcnt(0)
	v_add_co_u32 v8, vcc_lo, v4, s11
	v_add_co_ci_u32_e32 v9, vcc_lo, s10, v5, vcc_lo
	s_and_saveexec_b32 s9, s0
	s_cbranch_execz .LBB2_95
; %bb.94:
	v_dual_mov_b32 v10, s8 :: v_dual_mov_b32 v11, v2
	v_dual_mov_b32 v12, 2 :: v_dual_mov_b32 v13, 1
	global_store_b128 v[8:9], v[10:13], off offset:8
.LBB2_95:
	s_or_b32 exec_lo, exec_lo, s9
	s_lshl_b64 s[6:7], s[6:7], 12
	s_mov_b32 s8, 0
	v_add_co_u32 v6, vcc_lo, v6, s6
	v_add_co_ci_u32_e32 v7, vcc_lo, s7, v7, vcc_lo
	s_mov_b32 s11, s8
	s_mov_b32 s9, s8
	;; [unrolled: 1-line block ×3, first 2 shown]
	v_and_or_b32 v0, 0xffffff1f, v0, 32
	v_dual_mov_b32 v3, v2 :: v_dual_lshlrev_b32 v14, 6, v33
	v_readfirstlane_b32 s6, v6
	v_readfirstlane_b32 s7, v7
	v_dual_mov_b32 v13, s11 :: v_dual_mov_b32 v12, s10
	v_dual_mov_b32 v11, s9 :: v_dual_mov_b32 v10, s8
	s_clause 0x3
	global_store_b128 v14, v[0:3], s[6:7]
	global_store_b128 v14, v[10:13], s[6:7] offset:16
	global_store_b128 v14, v[10:13], s[6:7] offset:32
	;; [unrolled: 1-line block ×3, first 2 shown]
	s_and_saveexec_b32 s6, s0
	s_cbranch_execz .LBB2_102
; %bb.96:
	v_mov_b32_e32 v6, 0
	s_mov_b32 s7, exec_lo
	s_clause 0x1
	global_load_b64 v[12:13], v6, s[2:3] offset:32 glc
	global_load_b64 v[0:1], v6, s[2:3] offset:40
	v_dual_mov_b32 v11, s5 :: v_dual_mov_b32 v10, s4
	s_waitcnt vmcnt(0)
	v_and_b32_e32 v1, s5, v1
	v_and_b32_e32 v0, s4, v0
	s_delay_alu instid0(VALU_DEP_2) | instskip(NEXT) | instid1(VALU_DEP_2)
	v_mul_lo_u32 v1, v1, 24
	v_mul_hi_u32 v2, v0, 24
	v_mul_lo_u32 v0, v0, 24
	s_delay_alu instid0(VALU_DEP_2) | instskip(NEXT) | instid1(VALU_DEP_2)
	v_add_nc_u32_e32 v1, v2, v1
	v_add_co_u32 v4, vcc_lo, v4, v0
	s_delay_alu instid0(VALU_DEP_2)
	v_add_co_ci_u32_e32 v5, vcc_lo, v5, v1, vcc_lo
	global_store_b64 v[4:5], v[12:13], off
	s_waitcnt_vscnt null, 0x0
	global_atomic_cmpswap_b64 v[2:3], v6, v[10:13], s[2:3] offset:32 glc
	s_waitcnt vmcnt(0)
	v_cmpx_ne_u64_e64 v[2:3], v[12:13]
	s_cbranch_execz .LBB2_98
.LBB2_97:                               ; =>This Inner Loop Header: Depth=1
	v_dual_mov_b32 v0, s4 :: v_dual_mov_b32 v1, s5
	s_sleep 1
	global_store_b64 v[4:5], v[2:3], off
	s_waitcnt_vscnt null, 0x0
	global_atomic_cmpswap_b64 v[0:1], v6, v[0:3], s[2:3] offset:32 glc
	s_waitcnt vmcnt(0)
	v_cmp_eq_u64_e32 vcc_lo, v[0:1], v[2:3]
	v_dual_mov_b32 v3, v1 :: v_dual_mov_b32 v2, v0
	s_or_b32 s8, vcc_lo, s8
	s_delay_alu instid0(SALU_CYCLE_1)
	s_and_not1_b32 exec_lo, exec_lo, s8
	s_cbranch_execnz .LBB2_97
.LBB2_98:
	s_or_b32 exec_lo, exec_lo, s7
	v_mov_b32_e32 v3, 0
	s_mov_b32 s8, exec_lo
	s_mov_b32 s7, exec_lo
	v_mbcnt_lo_u32_b32 v2, s8, 0
	global_load_b64 v[0:1], v3, s[2:3] offset:16
	v_cmpx_eq_u32_e32 0, v2
	s_cbranch_execz .LBB2_100
; %bb.99:
	s_bcnt1_i32_b32 s8, s8
	s_delay_alu instid0(SALU_CYCLE_1)
	v_mov_b32_e32 v2, s8
	s_waitcnt vmcnt(0)
	global_atomic_add_u64 v[0:1], v[2:3], off offset:8
.LBB2_100:
	s_or_b32 exec_lo, exec_lo, s7
	s_waitcnt vmcnt(0)
	global_load_b64 v[2:3], v[0:1], off offset:16
	s_waitcnt vmcnt(0)
	v_cmp_eq_u64_e32 vcc_lo, 0, v[2:3]
	s_cbranch_vccnz .LBB2_102
; %bb.101:
	global_load_b32 v0, v[0:1], off offset:24
	s_waitcnt vmcnt(0)
	v_dual_mov_b32 v1, 0 :: v_dual_and_b32 v4, 0xffffff, v0
	s_waitcnt_vscnt null, 0x0
	global_store_b64 v[2:3], v[0:1], off
	v_readfirstlane_b32 m0, v4
	s_sendmsg sendmsg(MSG_INTERRUPT)
.LBB2_102:
	s_or_b32 exec_lo, exec_lo, s6
	s_branch .LBB2_106
	.p2align	6
.LBB2_103:                              ;   in Loop: Header=BB2_106 Depth=1
	s_or_b32 exec_lo, exec_lo, s6
	s_delay_alu instid0(VALU_DEP_1) | instskip(NEXT) | instid1(VALU_DEP_1)
	v_readfirstlane_b32 s6, v0
	s_cmp_eq_u32 s6, 0
	s_cbranch_scc1 .LBB2_105
; %bb.104:                              ;   in Loop: Header=BB2_106 Depth=1
	s_sleep 1
	s_cbranch_execnz .LBB2_106
	s_branch .LBB2_109
	.p2align	6
.LBB2_105:
	s_branch .LBB2_109
.LBB2_106:                              ; =>This Inner Loop Header: Depth=1
	v_mov_b32_e32 v0, 1
	s_and_saveexec_b32 s6, s0
	s_cbranch_execz .LBB2_103
; %bb.107:                              ;   in Loop: Header=BB2_106 Depth=1
	global_load_b32 v0, v[8:9], off offset:20 glc
	s_waitcnt vmcnt(0)
	buffer_gl1_inv
	buffer_gl0_inv
	v_and_b32_e32 v0, 1, v0
	s_branch .LBB2_103
.LBB2_108:
	s_or_b32 exec_lo, exec_lo, s1
	s_waitcnt vmcnt(0) lgkmcnt(0)
	s_setpc_b64 s[30:31]
.LBB2_109:
	s_and_saveexec_b32 s6, s0
	s_cbranch_execz .LBB2_113
; %bb.110:
	v_mov_b32_e32 v6, 0
	s_clause 0x2
	global_load_b64 v[2:3], v6, s[2:3] offset:40
	global_load_b64 v[7:8], v6, s[2:3] offset:24 glc
	global_load_b64 v[4:5], v6, s[2:3]
	s_waitcnt vmcnt(2)
	v_add_co_u32 v9, vcc_lo, v2, 1
	v_add_co_ci_u32_e32 v10, vcc_lo, 0, v3, vcc_lo
	s_delay_alu instid0(VALU_DEP_2) | instskip(NEXT) | instid1(VALU_DEP_2)
	v_add_co_u32 v0, vcc_lo, v9, s4
	v_add_co_ci_u32_e32 v1, vcc_lo, s5, v10, vcc_lo
	s_delay_alu instid0(VALU_DEP_1) | instskip(SKIP_1) | instid1(VALU_DEP_1)
	v_cmp_eq_u64_e32 vcc_lo, 0, v[0:1]
	v_dual_cndmask_b32 v1, v1, v10 :: v_dual_cndmask_b32 v0, v0, v9
	v_and_b32_e32 v3, v1, v3
	s_delay_alu instid0(VALU_DEP_2) | instskip(NEXT) | instid1(VALU_DEP_2)
	v_and_b32_e32 v2, v0, v2
	v_mul_lo_u32 v3, v3, 24
	s_delay_alu instid0(VALU_DEP_2) | instskip(SKIP_1) | instid1(VALU_DEP_2)
	v_mul_hi_u32 v9, v2, 24
	v_mul_lo_u32 v2, v2, 24
	v_add_nc_u32_e32 v3, v9, v3
	s_waitcnt vmcnt(0)
	s_delay_alu instid0(VALU_DEP_2) | instskip(SKIP_1) | instid1(VALU_DEP_3)
	v_add_co_u32 v4, vcc_lo, v4, v2
	v_mov_b32_e32 v2, v7
	v_add_co_ci_u32_e32 v5, vcc_lo, v5, v3, vcc_lo
	v_mov_b32_e32 v3, v8
	global_store_b64 v[4:5], v[7:8], off
	s_waitcnt_vscnt null, 0x0
	global_atomic_cmpswap_b64 v[2:3], v6, v[0:3], s[2:3] offset:24 glc
	s_waitcnt vmcnt(0)
	v_cmp_ne_u64_e32 vcc_lo, v[2:3], v[7:8]
	s_and_b32 exec_lo, exec_lo, vcc_lo
	s_cbranch_execz .LBB2_113
; %bb.111:
	s_mov_b32 s0, 0
.LBB2_112:                              ; =>This Inner Loop Header: Depth=1
	s_sleep 1
	global_store_b64 v[4:5], v[2:3], off
	s_waitcnt_vscnt null, 0x0
	global_atomic_cmpswap_b64 v[7:8], v6, v[0:3], s[2:3] offset:24 glc
	s_waitcnt vmcnt(0)
	v_cmp_eq_u64_e32 vcc_lo, v[7:8], v[2:3]
	v_dual_mov_b32 v2, v7 :: v_dual_mov_b32 v3, v8
	s_or_b32 s0, vcc_lo, s0
	s_delay_alu instid0(SALU_CYCLE_1)
	s_and_not1_b32 exec_lo, exec_lo, s0
	s_cbranch_execnz .LBB2_112
.LBB2_113:
	s_or_b32 exec_lo, exec_lo, s6
	s_delay_alu instid0(SALU_CYCLE_1)
	s_or_b32 exec_lo, exec_lo, s1
	s_waitcnt lgkmcnt(0)
	s_setpc_b64 s[30:31]
.Lfunc_end2:
	.size	__ockl_fprintf_append_string_n, .Lfunc_end2-__ockl_fprintf_append_string_n
                                        ; -- End function
	.section	.AMDGPU.csdata,"",@progbits
; Function info:
; codeLenInByte = 4740
; NumSgprs: 34
; NumVgprs: 36
; ScratchSize: 0
; MemoryBound: 0
	.text
	.p2align	2                               ; -- Begin function __assert_fail
	.type	__assert_fail,@function
__assert_fail:                          ; @__assert_fail
; %bb.0:
	s_waitcnt vmcnt(0) expcnt(0) lgkmcnt(0)
	s_mov_b32 s20, s33
	s_mov_b32 s33, s32
	s_or_saveexec_b32 s0, -1
	scratch_store_b32 off, v40, s33 offset:48 ; 4-byte Folded Spill
	s_mov_b32 exec_lo, s0
	v_writelane_b32 v40, s30, 0
	s_add_i32 s32, s32, 64
	v_writelane_b32 v40, s31, 1
	s_getpc_b64 s[0:1]
	s_add_u32 s0, s0, __const.__assert_fail.fmt@rel32@lo+4
	s_addc_u32 s1, s1, __const.__assert_fail.fmt@rel32@hi+12
	s_getpc_b64 s[2:3]
	s_add_u32 s2, s2, __const.__assert_fail.fmt@rel32@lo+20
	s_addc_u32 s3, s3, __const.__assert_fail.fmt@rel32@hi+28
	v_mbcnt_lo_u32_b32 v35, -1, 0
	s_clause 0x1
	s_load_b128 s[4:7], s[0:1], 0x0
	s_load_b128 s[12:15], s[2:3], 0x0
	s_load_b64 s[2:3], s[8:9], 0x50
	v_dual_mov_b32 v5, v1 :: v_dual_mov_b32 v4, v0
	v_mov_b32_e32 v14, 0x73256020
	v_readfirstlane_b32 s0, v35
	v_mov_b32_e32 v0, 0
	v_dual_mov_b32 v2, 0 :: v_dual_mov_b32 v3, 0xa2e
	v_mov_b32_e32 v15, 0x61662027
	v_dual_mov_b32 v16, 0x64656c69 :: v_dual_mov_b32 v1, 0
	v_cmp_eq_u32_e64 s0, s0, v35
	s_waitcnt lgkmcnt(0)
	v_dual_mov_b32 v9, s7 :: v_dual_mov_b32 v8, s6
	v_dual_mov_b32 v7, s5 :: v_dual_mov_b32 v6, s4
	v_dual_mov_b32 v10, s12 :: v_dual_mov_b32 v11, s13
	v_dual_mov_b32 v12, s14 :: v_dual_mov_b32 v13, s15
	s_clause 0x4
	scratch_store_b128 off, v[6:9], s33
	scratch_store_b128 off, v[10:13], s33 offset:16
	scratch_store_b8 off, v2, s33 offset:46
	scratch_store_b16 off, v3, s33 offset:44
	scratch_store_b96 off, v[14:16], s33 offset:32
	s_and_saveexec_b32 s1, s0
	s_cbranch_execz .LBB3_6
; %bb.1:
	global_load_b64 v[8:9], v2, s[2:3] offset:24 glc
	s_waitcnt vmcnt(0)
	buffer_gl1_inv
	buffer_gl0_inv
	s_clause 0x1
	global_load_b64 v[0:1], v2, s[2:3] offset:40
	global_load_b64 v[6:7], v2, s[2:3]
	s_mov_b32 s4, exec_lo
	s_waitcnt vmcnt(1)
	v_and_b32_e32 v1, v1, v9
	v_and_b32_e32 v0, v0, v8
	s_delay_alu instid0(VALU_DEP_2) | instskip(NEXT) | instid1(VALU_DEP_2)
	v_mul_lo_u32 v1, v1, 24
	v_mul_hi_u32 v3, v0, 24
	v_mul_lo_u32 v0, v0, 24
	s_delay_alu instid0(VALU_DEP_2) | instskip(SKIP_1) | instid1(VALU_DEP_2)
	v_add_nc_u32_e32 v1, v3, v1
	s_waitcnt vmcnt(0)
	v_add_co_u32 v0, vcc_lo, v6, v0
	s_delay_alu instid0(VALU_DEP_2)
	v_add_co_ci_u32_e32 v1, vcc_lo, v7, v1, vcc_lo
	global_load_b64 v[6:7], v[0:1], off glc
	s_waitcnt vmcnt(0)
	global_atomic_cmpswap_b64 v[0:1], v2, v[6:9], s[2:3] offset:24 glc
	s_waitcnt vmcnt(0)
	buffer_gl1_inv
	buffer_gl0_inv
	v_cmpx_ne_u64_e64 v[0:1], v[8:9]
	s_cbranch_execz .LBB3_5
; %bb.2:
	s_mov_b32 s5, 0
	.p2align	6
.LBB3_3:                                ; =>This Inner Loop Header: Depth=1
	s_sleep 1
	s_clause 0x1
	global_load_b64 v[6:7], v2, s[2:3] offset:40
	global_load_b64 v[10:11], v2, s[2:3]
	v_dual_mov_b32 v9, v1 :: v_dual_mov_b32 v8, v0
	s_waitcnt vmcnt(1)
	s_delay_alu instid0(VALU_DEP_1) | instskip(SKIP_1) | instid1(VALU_DEP_1)
	v_and_b32_e32 v3, v6, v8
	s_waitcnt vmcnt(0)
	v_mad_u64_u32 v[0:1], null, v3, 24, v[10:11]
	v_and_b32_e32 v3, v7, v9
	s_delay_alu instid0(VALU_DEP_1) | instskip(NEXT) | instid1(VALU_DEP_1)
	v_mad_u64_u32 v[6:7], null, v3, 24, v[1:2]
	v_mov_b32_e32 v1, v6
	global_load_b64 v[6:7], v[0:1], off glc
	s_waitcnt vmcnt(0)
	global_atomic_cmpswap_b64 v[0:1], v2, v[6:9], s[2:3] offset:24 glc
	s_waitcnt vmcnt(0)
	buffer_gl1_inv
	buffer_gl0_inv
	v_cmp_eq_u64_e32 vcc_lo, v[0:1], v[8:9]
	s_or_b32 s5, vcc_lo, s5
	s_delay_alu instid0(SALU_CYCLE_1)
	s_and_not1_b32 exec_lo, exec_lo, s5
	s_cbranch_execnz .LBB3_3
; %bb.4:
	s_or_b32 exec_lo, exec_lo, s5
.LBB3_5:
	s_delay_alu instid0(SALU_CYCLE_1)
	s_or_b32 exec_lo, exec_lo, s4
.LBB3_6:
	s_delay_alu instid0(SALU_CYCLE_1)
	s_or_b32 exec_lo, exec_lo, s1
	s_clause 0x1
	global_load_b64 v[10:11], v2, s[2:3] offset:40
	global_load_b128 v[6:9], v2, s[2:3]
	v_readfirstlane_b32 s4, v0
	v_readfirstlane_b32 s5, v1
	s_mov_b32 s1, exec_lo
	s_waitcnt vmcnt(1)
	v_readfirstlane_b32 s6, v10
	v_readfirstlane_b32 s7, v11
	s_delay_alu instid0(VALU_DEP_1) | instskip(NEXT) | instid1(SALU_CYCLE_1)
	s_and_b64 s[6:7], s[4:5], s[6:7]
	s_mul_i32 s10, s7, 24
	s_mul_hi_u32 s11, s6, 24
	s_mul_i32 s12, s6, 24
	s_add_i32 s11, s11, s10
	s_waitcnt vmcnt(0)
	v_add_co_u32 v10, vcc_lo, v6, s12
	v_add_co_ci_u32_e32 v11, vcc_lo, s11, v7, vcc_lo
	s_and_saveexec_b32 s10, s0
	s_cbranch_execz .LBB3_8
; %bb.7:
	v_dual_mov_b32 v0, s1 :: v_dual_mov_b32 v1, 0
	v_dual_mov_b32 v2, 2 :: v_dual_mov_b32 v3, 1
	global_store_b128 v[10:11], v[0:3], off offset:8
.LBB3_8:
	s_or_b32 exec_lo, exec_lo, s10
	s_lshl_b64 s[6:7], s[6:7], 12
	v_dual_mov_b32 v1, 0 :: v_dual_lshlrev_b32 v34, 6, v35
	v_add_co_u32 v8, vcc_lo, v8, s6
	v_add_co_ci_u32_e32 v9, vcc_lo, s7, v9, vcc_lo
	s_mov_b32 s12, 0
	s_delay_alu instid0(VALU_DEP_2)
	v_add_co_u32 v12, vcc_lo, v8, v34
	s_mov_b32 s15, s12
	s_mov_b32 s13, s12
	;; [unrolled: 1-line block ×3, first 2 shown]
	v_dual_mov_b32 v0, 33 :: v_dual_mov_b32 v3, v1
	v_dual_mov_b32 v2, 1 :: v_dual_mov_b32 v17, s15
	v_readfirstlane_b32 s6, v8
	v_readfirstlane_b32 s7, v9
	v_add_co_ci_u32_e32 v13, vcc_lo, 0, v9, vcc_lo
	v_dual_mov_b32 v16, s14 :: v_dual_mov_b32 v15, s13
	v_mov_b32_e32 v14, s12
	s_clause 0x3
	global_store_b128 v34, v[0:3], s[6:7]
	global_store_b128 v34, v[14:17], s[6:7] offset:16
	global_store_b128 v34, v[14:17], s[6:7] offset:32
	;; [unrolled: 1-line block ×3, first 2 shown]
	s_and_saveexec_b32 s1, s0
	s_cbranch_execz .LBB3_16
; %bb.9:
	s_clause 0x1
	global_load_b64 v[16:17], v1, s[2:3] offset:32 glc
	global_load_b64 v[2:3], v1, s[2:3] offset:40
	v_mov_b32_e32 v14, s4
	s_mov_b32 s6, exec_lo
	s_waitcnt vmcnt(0)
	v_dual_mov_b32 v15, s5 :: v_dual_and_b32 v0, s5, v3
	v_and_b32_e32 v2, s4, v2
	s_delay_alu instid0(VALU_DEP_2) | instskip(NEXT) | instid1(VALU_DEP_2)
	v_mul_lo_u32 v0, v0, 24
	v_mul_hi_u32 v3, v2, 24
	v_mul_lo_u32 v2, v2, 24
	s_delay_alu instid0(VALU_DEP_2) | instskip(NEXT) | instid1(VALU_DEP_2)
	v_add_nc_u32_e32 v0, v3, v0
	v_add_co_u32 v2, vcc_lo, v6, v2
	s_delay_alu instid0(VALU_DEP_2)
	v_add_co_ci_u32_e32 v3, vcc_lo, v7, v0, vcc_lo
	global_store_b64 v[2:3], v[16:17], off
	s_waitcnt_vscnt null, 0x0
	global_atomic_cmpswap_b64 v[8:9], v1, v[14:17], s[2:3] offset:32 glc
	s_waitcnt vmcnt(0)
	v_cmpx_ne_u64_e64 v[8:9], v[16:17]
	s_cbranch_execz .LBB3_12
; %bb.10:
	s_mov_b32 s7, 0
.LBB3_11:                               ; =>This Inner Loop Header: Depth=1
	v_dual_mov_b32 v6, s4 :: v_dual_mov_b32 v7, s5
	s_sleep 1
	global_store_b64 v[2:3], v[8:9], off
	s_waitcnt_vscnt null, 0x0
	global_atomic_cmpswap_b64 v[6:7], v1, v[6:9], s[2:3] offset:32 glc
	s_waitcnt vmcnt(0)
	v_cmp_eq_u64_e32 vcc_lo, v[6:7], v[8:9]
	v_dual_mov_b32 v9, v7 :: v_dual_mov_b32 v8, v6
	s_or_b32 s7, vcc_lo, s7
	s_delay_alu instid0(SALU_CYCLE_1)
	s_and_not1_b32 exec_lo, exec_lo, s7
	s_cbranch_execnz .LBB3_11
.LBB3_12:
	s_or_b32 exec_lo, exec_lo, s6
	v_mov_b32_e32 v3, 0
	s_mov_b32 s7, exec_lo
	s_mov_b32 s6, exec_lo
	v_mbcnt_lo_u32_b32 v2, s7, 0
	global_load_b64 v[0:1], v3, s[2:3] offset:16
	v_cmpx_eq_u32_e32 0, v2
	s_cbranch_execz .LBB3_14
; %bb.13:
	s_bcnt1_i32_b32 s7, s7
	s_delay_alu instid0(SALU_CYCLE_1)
	v_mov_b32_e32 v2, s7
	s_waitcnt vmcnt(0)
	global_atomic_add_u64 v[0:1], v[2:3], off offset:8
.LBB3_14:
	s_or_b32 exec_lo, exec_lo, s6
	s_waitcnt vmcnt(0)
	global_load_b64 v[2:3], v[0:1], off offset:16
	s_waitcnt vmcnt(0)
	v_cmp_eq_u64_e32 vcc_lo, 0, v[2:3]
	s_cbranch_vccnz .LBB3_16
; %bb.15:
	global_load_b32 v0, v[0:1], off offset:24
	s_waitcnt vmcnt(0)
	v_dual_mov_b32 v1, 0 :: v_dual_and_b32 v6, 0xffffff, v0
	s_waitcnt_vscnt null, 0x0
	global_store_b64 v[2:3], v[0:1], off
	v_readfirstlane_b32 m0, v6
	s_sendmsg sendmsg(MSG_INTERRUPT)
.LBB3_16:
	s_or_b32 exec_lo, exec_lo, s1
	s_branch .LBB3_20
	.p2align	6
.LBB3_17:                               ;   in Loop: Header=BB3_20 Depth=1
	s_or_b32 exec_lo, exec_lo, s1
	s_delay_alu instid0(VALU_DEP_1) | instskip(NEXT) | instid1(VALU_DEP_1)
	v_readfirstlane_b32 s1, v0
	s_cmp_eq_u32 s1, 0
	s_cbranch_scc1 .LBB3_19
; %bb.18:                               ;   in Loop: Header=BB3_20 Depth=1
	s_sleep 1
	s_cbranch_execnz .LBB3_20
	s_branch .LBB3_22
	.p2align	6
.LBB3_19:
	s_branch .LBB3_22
.LBB3_20:                               ; =>This Inner Loop Header: Depth=1
	v_mov_b32_e32 v0, 1
	s_and_saveexec_b32 s1, s0
	s_cbranch_execz .LBB3_17
; %bb.21:                               ;   in Loop: Header=BB3_20 Depth=1
	global_load_b32 v0, v[10:11], off offset:20 glc
	s_waitcnt vmcnt(0)
	buffer_gl1_inv
	buffer_gl0_inv
	v_and_b32_e32 v0, 1, v0
	s_branch .LBB3_17
.LBB3_22:
	global_load_b64 v[6:7], v[12:13], off
	s_and_saveexec_b32 s1, s0
	s_cbranch_execz .LBB3_26
; %bb.23:
	v_mov_b32_e32 v10, 0
	s_clause 0x2
	global_load_b64 v[2:3], v10, s[2:3] offset:40
	global_load_b64 v[11:12], v10, s[2:3] offset:24 glc
	global_load_b64 v[8:9], v10, s[2:3]
	s_waitcnt vmcnt(2)
	v_add_co_u32 v13, vcc_lo, v2, 1
	v_add_co_ci_u32_e32 v14, vcc_lo, 0, v3, vcc_lo
	s_delay_alu instid0(VALU_DEP_2) | instskip(NEXT) | instid1(VALU_DEP_2)
	v_add_co_u32 v0, vcc_lo, v13, s4
	v_add_co_ci_u32_e32 v1, vcc_lo, s5, v14, vcc_lo
	s_delay_alu instid0(VALU_DEP_1) | instskip(SKIP_1) | instid1(VALU_DEP_1)
	v_cmp_eq_u64_e32 vcc_lo, 0, v[0:1]
	v_dual_cndmask_b32 v1, v1, v14 :: v_dual_cndmask_b32 v0, v0, v13
	v_and_b32_e32 v3, v1, v3
	s_delay_alu instid0(VALU_DEP_2) | instskip(NEXT) | instid1(VALU_DEP_2)
	v_and_b32_e32 v2, v0, v2
	v_mul_lo_u32 v3, v3, 24
	s_delay_alu instid0(VALU_DEP_2) | instskip(SKIP_1) | instid1(VALU_DEP_2)
	v_mul_hi_u32 v13, v2, 24
	v_mul_lo_u32 v2, v2, 24
	v_add_nc_u32_e32 v3, v13, v3
	s_waitcnt vmcnt(0)
	s_delay_alu instid0(VALU_DEP_2) | instskip(SKIP_1) | instid1(VALU_DEP_3)
	v_add_co_u32 v8, vcc_lo, v8, v2
	v_mov_b32_e32 v2, v11
	v_add_co_ci_u32_e32 v9, vcc_lo, v9, v3, vcc_lo
	v_mov_b32_e32 v3, v12
	global_store_b64 v[8:9], v[11:12], off
	s_waitcnt_vscnt null, 0x0
	global_atomic_cmpswap_b64 v[2:3], v10, v[0:3], s[2:3] offset:24 glc
	s_waitcnt vmcnt(0)
	v_cmp_ne_u64_e32 vcc_lo, v[2:3], v[11:12]
	s_and_b32 exec_lo, exec_lo, vcc_lo
	s_cbranch_execz .LBB3_26
; %bb.24:
	s_mov_b32 s0, 0
.LBB3_25:                               ; =>This Inner Loop Header: Depth=1
	s_sleep 1
	global_store_b64 v[8:9], v[2:3], off
	s_waitcnt_vscnt null, 0x0
	global_atomic_cmpswap_b64 v[11:12], v10, v[0:3], s[2:3] offset:24 glc
	s_waitcnt vmcnt(0)
	v_cmp_eq_u64_e32 vcc_lo, v[11:12], v[2:3]
	v_dual_mov_b32 v2, v11 :: v_dual_mov_b32 v3, v12
	s_or_b32 s0, vcc_lo, s0
	s_delay_alu instid0(SALU_CYCLE_1)
	s_and_not1_b32 exec_lo, exec_lo, s0
	s_cbranch_execnz .LBB3_25
.LBB3_26:
	s_or_b32 exec_lo, exec_lo, s1
	v_mov_b32_e32 v1, s33
	s_mov_b32 s0, 0
.LBB3_27:                               ; =>This Inner Loop Header: Depth=1
	scratch_load_u8 v2, v1, off
	v_add_nc_u32_e32 v0, 1, v1
	s_delay_alu instid0(VALU_DEP_1) | instskip(SKIP_3) | instid1(SALU_CYCLE_1)
	v_mov_b32_e32 v1, v0
	s_waitcnt vmcnt(0)
	v_cmp_eq_u16_e32 vcc_lo, 0, v2
	s_or_b32 s0, vcc_lo, s0
	s_and_not1_b32 exec_lo, exec_lo, s0
	s_cbranch_execnz .LBB3_27
; %bb.28:
	s_or_b32 exec_lo, exec_lo, s0
	v_cmp_ne_u32_e64 s0, -1, s33
	s_delay_alu instid0(VALU_DEP_1)
	s_and_b32 vcc_lo, exec_lo, s0
	s_cbranch_vccz .LBB3_113
; %bb.29:
	v_subrev_nc_u32_e32 v28, s33, v0
	v_dual_mov_b32 v9, 0 :: v_dual_and_b32 v36, 2, v6
	v_dual_mov_b32 v1, v7 :: v_dual_and_b32 v0, -3, v6
	s_delay_alu instid0(VALU_DEP_3)
	v_ashrrev_i32_e32 v29, 31, v28
	v_dual_mov_b32 v37, s33 :: v_dual_mov_b32 v10, 2
	v_mov_b32_e32 v11, 1
	s_mov_b32 s11, 0
	s_mov_b32 s10, 0
	s_branch .LBB3_31
.LBB3_30:                               ;   in Loop: Header=BB3_31 Depth=1
	s_or_b32 exec_lo, exec_lo, s1
	v_sub_co_u32 v28, vcc_lo, v28, v30
	v_sub_co_ci_u32_e32 v29, vcc_lo, v29, v31, vcc_lo
	v_add_nc_u32_e32 v37, v37, v30
	s_delay_alu instid0(VALU_DEP_2) | instskip(SKIP_1) | instid1(SALU_CYCLE_1)
	v_cmp_eq_u64_e32 vcc_lo, 0, v[28:29]
	s_or_b32 s10, vcc_lo, s10
	s_and_not1_b32 exec_lo, exec_lo, s10
	s_cbranch_execz .LBB3_114
.LBB3_31:                               ; =>This Loop Header: Depth=1
                                        ;     Child Loop BB3_34 Depth 2
                                        ;     Child Loop BB3_42 Depth 2
	;; [unrolled: 1-line block ×11, first 2 shown]
	v_cmp_gt_u64_e32 vcc_lo, 56, v[28:29]
	s_mov_b32 s4, exec_lo
                                        ; implicit-def: $vgpr2_vgpr3
                                        ; implicit-def: $sgpr1
	v_dual_cndmask_b32 v31, 0, v29 :: v_dual_cndmask_b32 v30, 56, v28
	v_cmpx_gt_u64_e32 8, v[28:29]
	s_xor_b32 s4, exec_lo, s4
	s_cbranch_execz .LBB3_37
; %bb.32:                               ;   in Loop: Header=BB3_31 Depth=1
	s_waitcnt vmcnt(0)
	v_mov_b32_e32 v2, 0
	v_mov_b32_e32 v3, 0
	s_mov_b64 s[0:1], 0
	s_mov_b32 s5, exec_lo
	v_cmpx_ne_u64_e32 0, v[28:29]
	s_cbranch_execz .LBB3_36
; %bb.33:                               ;   in Loop: Header=BB3_31 Depth=1
	v_lshlrev_b64 v[12:13], 3, v[30:31]
	v_mov_b32_e32 v2, 0
	v_dual_mov_b32 v3, 0 :: v_dual_mov_b32 v8, v37
	s_mov_b32 s6, 0
.LBB3_34:                               ;   Parent Loop BB3_31 Depth=1
                                        ; =>  This Inner Loop Header: Depth=2
	scratch_load_u8 v13, v8, off
	v_mov_b32_e32 v14, s11
	v_add_nc_u32_e32 v8, 1, v8
	s_waitcnt vmcnt(0)
	v_and_b32_e32 v13, 0xffff, v13
	s_delay_alu instid0(VALU_DEP_1) | instskip(SKIP_3) | instid1(VALU_DEP_2)
	v_lshlrev_b64 v[13:14], s0, v[13:14]
	s_add_u32 s0, s0, 8
	s_addc_u32 s1, s1, 0
	v_cmp_eq_u32_e32 vcc_lo, s0, v12
	v_or_b32_e32 v3, v14, v3
	s_delay_alu instid0(VALU_DEP_3) | instskip(SKIP_1) | instid1(SALU_CYCLE_1)
	v_or_b32_e32 v2, v13, v2
	s_or_b32 s6, vcc_lo, s6
	s_and_not1_b32 exec_lo, exec_lo, s6
	s_cbranch_execnz .LBB3_34
; %bb.35:                               ;   in Loop: Header=BB3_31 Depth=1
	s_or_b32 exec_lo, exec_lo, s6
.LBB3_36:                               ;   in Loop: Header=BB3_31 Depth=1
	s_delay_alu instid0(SALU_CYCLE_1)
	s_or_b32 exec_lo, exec_lo, s5
	s_mov_b32 s1, 0
.LBB3_37:                               ;   in Loop: Header=BB3_31 Depth=1
	s_or_saveexec_b32 s0, s4
	v_mov_b32_e32 v14, s1
	v_mov_b32_e32 v8, v37
	s_xor_b32 exec_lo, exec_lo, s0
	s_cbranch_execz .LBB3_39
; %bb.38:                               ;   in Loop: Header=BB3_31 Depth=1
	scratch_load_b64 v[2:3], v37, off
	v_add_nc_u32_e32 v14, -8, v30
	s_waitcnt vmcnt(0)
	v_and_b32_e32 v8, 0xff, v3
	v_and_b32_e32 v12, 0xff00, v3
	;; [unrolled: 1-line block ×4, first 2 shown]
	v_or3_b32 v2, v2, 0, 0
	s_delay_alu instid0(VALU_DEP_4) | instskip(NEXT) | instid1(VALU_DEP_1)
	v_or_b32_e32 v8, v8, v12
	v_or3_b32 v3, v8, v13, v3
	v_add_nc_u32_e32 v8, 8, v37
.LBB3_39:                               ;   in Loop: Header=BB3_31 Depth=1
	s_or_b32 exec_lo, exec_lo, s0
                                        ; implicit-def: $vgpr12_vgpr13
                                        ; implicit-def: $sgpr1
	s_delay_alu instid0(SALU_CYCLE_1)
	s_mov_b32 s0, exec_lo
	v_cmpx_gt_u32_e32 8, v14
	s_xor_b32 s4, exec_lo, s0
	s_cbranch_execz .LBB3_45
; %bb.40:                               ;   in Loop: Header=BB3_31 Depth=1
	v_mov_b32_e32 v12, 0
	v_mov_b32_e32 v13, 0
	s_mov_b32 s5, exec_lo
	v_cmpx_ne_u32_e32 0, v14
	s_cbranch_execz .LBB3_44
; %bb.41:                               ;   in Loop: Header=BB3_31 Depth=1
	v_mov_b32_e32 v12, 0
	v_mov_b32_e32 v13, 0
	s_mov_b64 s[0:1], 0
	s_mov_b32 s6, 0
	s_mov_b32 s7, 0
	.p2align	6
.LBB3_42:                               ;   Parent Loop BB3_31 Depth=1
                                        ; =>  This Inner Loop Header: Depth=2
	s_delay_alu instid0(SALU_CYCLE_1) | instskip(SKIP_1) | instid1(SALU_CYCLE_1)
	v_dual_mov_b32 v16, s11 :: v_dual_add_nc_u32 v15, s7, v8
	s_add_i32 s7, s7, 1
	v_cmp_eq_u32_e32 vcc_lo, s7, v14
	scratch_load_u8 v15, v15, off
	s_waitcnt vmcnt(0)
	v_and_b32_e32 v15, 0xffff, v15
	s_delay_alu instid0(VALU_DEP_1) | instskip(SKIP_3) | instid1(VALU_DEP_1)
	v_lshlrev_b64 v[15:16], s0, v[15:16]
	s_add_u32 s0, s0, 8
	s_addc_u32 s1, s1, 0
	s_or_b32 s6, vcc_lo, s6
	v_or_b32_e32 v13, v16, v13
	s_delay_alu instid0(VALU_DEP_2)
	v_or_b32_e32 v12, v15, v12
	s_and_not1_b32 exec_lo, exec_lo, s6
	s_cbranch_execnz .LBB3_42
; %bb.43:                               ;   in Loop: Header=BB3_31 Depth=1
	s_or_b32 exec_lo, exec_lo, s6
.LBB3_44:                               ;   in Loop: Header=BB3_31 Depth=1
	s_delay_alu instid0(SALU_CYCLE_1)
	s_or_b32 exec_lo, exec_lo, s5
	s_mov_b32 s1, 0
                                        ; implicit-def: $vgpr14
.LBB3_45:                               ;   in Loop: Header=BB3_31 Depth=1
	s_or_saveexec_b32 s0, s4
	v_mov_b32_e32 v16, s1
	s_xor_b32 exec_lo, exec_lo, s0
	s_cbranch_execz .LBB3_47
; %bb.46:                               ;   in Loop: Header=BB3_31 Depth=1
	scratch_load_b64 v[12:13], v8, off
	v_add_nc_u32_e32 v8, 8, v8
	s_waitcnt vmcnt(0)
	v_and_b32_e32 v15, 0xff, v13
	v_and_b32_e32 v16, 0xff00, v13
	;; [unrolled: 1-line block ×4, first 2 shown]
	v_or3_b32 v12, v12, 0, 0
	s_delay_alu instid0(VALU_DEP_4) | instskip(SKIP_1) | instid1(VALU_DEP_2)
	v_or_b32_e32 v15, v15, v16
	v_add_nc_u32_e32 v16, -8, v14
	v_or3_b32 v13, v15, v17, v13
.LBB3_47:                               ;   in Loop: Header=BB3_31 Depth=1
	s_or_b32 exec_lo, exec_lo, s0
                                        ; implicit-def: $sgpr1
	s_delay_alu instid0(SALU_CYCLE_1) | instskip(NEXT) | instid1(VALU_DEP_1)
	s_mov_b32 s0, exec_lo
	v_cmpx_gt_u32_e32 8, v16
	s_xor_b32 s4, exec_lo, s0
	s_cbranch_execz .LBB3_53
; %bb.48:                               ;   in Loop: Header=BB3_31 Depth=1
	v_mov_b32_e32 v14, 0
	v_mov_b32_e32 v15, 0
	s_mov_b32 s5, exec_lo
	v_cmpx_ne_u32_e32 0, v16
	s_cbranch_execz .LBB3_52
; %bb.49:                               ;   in Loop: Header=BB3_31 Depth=1
	v_mov_b32_e32 v14, 0
	v_mov_b32_e32 v15, 0
	s_mov_b64 s[0:1], 0
	s_mov_b32 s6, 0
	s_mov_b32 s7, 0
	.p2align	6
.LBB3_50:                               ;   Parent Loop BB3_31 Depth=1
                                        ; =>  This Inner Loop Header: Depth=2
	s_delay_alu instid0(SALU_CYCLE_1) | instskip(SKIP_1) | instid1(SALU_CYCLE_1)
	v_dual_mov_b32 v18, s11 :: v_dual_add_nc_u32 v17, s7, v8
	s_add_i32 s7, s7, 1
	v_cmp_eq_u32_e32 vcc_lo, s7, v16
	scratch_load_u8 v17, v17, off
	s_waitcnt vmcnt(0)
	v_and_b32_e32 v17, 0xffff, v17
	s_delay_alu instid0(VALU_DEP_1) | instskip(SKIP_3) | instid1(VALU_DEP_1)
	v_lshlrev_b64 v[17:18], s0, v[17:18]
	s_add_u32 s0, s0, 8
	s_addc_u32 s1, s1, 0
	s_or_b32 s6, vcc_lo, s6
	v_or_b32_e32 v15, v18, v15
	s_delay_alu instid0(VALU_DEP_2)
	v_or_b32_e32 v14, v17, v14
	s_and_not1_b32 exec_lo, exec_lo, s6
	s_cbranch_execnz .LBB3_50
; %bb.51:                               ;   in Loop: Header=BB3_31 Depth=1
	s_or_b32 exec_lo, exec_lo, s6
.LBB3_52:                               ;   in Loop: Header=BB3_31 Depth=1
	s_delay_alu instid0(SALU_CYCLE_1)
	s_or_b32 exec_lo, exec_lo, s5
	s_mov_b32 s1, 0
                                        ; implicit-def: $vgpr16
.LBB3_53:                               ;   in Loop: Header=BB3_31 Depth=1
	s_or_saveexec_b32 s0, s4
	v_mov_b32_e32 v18, s1
	s_xor_b32 exec_lo, exec_lo, s0
	s_cbranch_execz .LBB3_55
; %bb.54:                               ;   in Loop: Header=BB3_31 Depth=1
	scratch_load_b64 v[14:15], v8, off
	v_add_nc_u32_e32 v8, 8, v8
	s_waitcnt vmcnt(0)
	v_and_b32_e32 v17, 0xff, v15
	v_and_b32_e32 v18, 0xff00, v15
	v_and_b32_e32 v19, 0xff0000, v15
	v_and_b32_e32 v15, 0xff000000, v15
	v_or3_b32 v14, v14, 0, 0
	s_delay_alu instid0(VALU_DEP_4) | instskip(SKIP_1) | instid1(VALU_DEP_2)
	v_or_b32_e32 v17, v17, v18
	v_add_nc_u32_e32 v18, -8, v16
	v_or3_b32 v15, v17, v19, v15
.LBB3_55:                               ;   in Loop: Header=BB3_31 Depth=1
	s_or_b32 exec_lo, exec_lo, s0
                                        ; implicit-def: $vgpr16_vgpr17
                                        ; implicit-def: $sgpr1
	s_delay_alu instid0(SALU_CYCLE_1) | instskip(NEXT) | instid1(VALU_DEP_1)
	s_mov_b32 s0, exec_lo
	v_cmpx_gt_u32_e32 8, v18
	s_xor_b32 s4, exec_lo, s0
	s_cbranch_execz .LBB3_61
; %bb.56:                               ;   in Loop: Header=BB3_31 Depth=1
	v_mov_b32_e32 v16, 0
	v_mov_b32_e32 v17, 0
	s_mov_b32 s5, exec_lo
	v_cmpx_ne_u32_e32 0, v18
	s_cbranch_execz .LBB3_60
; %bb.57:                               ;   in Loop: Header=BB3_31 Depth=1
	v_mov_b32_e32 v16, 0
	v_mov_b32_e32 v17, 0
	s_mov_b64 s[0:1], 0
	s_mov_b32 s6, 0
	s_mov_b32 s7, 0
	.p2align	6
.LBB3_58:                               ;   Parent Loop BB3_31 Depth=1
                                        ; =>  This Inner Loop Header: Depth=2
	s_delay_alu instid0(SALU_CYCLE_1) | instskip(SKIP_1) | instid1(SALU_CYCLE_1)
	v_dual_mov_b32 v20, s11 :: v_dual_add_nc_u32 v19, s7, v8
	s_add_i32 s7, s7, 1
	v_cmp_eq_u32_e32 vcc_lo, s7, v18
	scratch_load_u8 v19, v19, off
	s_waitcnt vmcnt(0)
	v_and_b32_e32 v19, 0xffff, v19
	s_delay_alu instid0(VALU_DEP_1) | instskip(SKIP_3) | instid1(VALU_DEP_1)
	v_lshlrev_b64 v[19:20], s0, v[19:20]
	s_add_u32 s0, s0, 8
	s_addc_u32 s1, s1, 0
	s_or_b32 s6, vcc_lo, s6
	v_or_b32_e32 v17, v20, v17
	s_delay_alu instid0(VALU_DEP_2)
	v_or_b32_e32 v16, v19, v16
	s_and_not1_b32 exec_lo, exec_lo, s6
	s_cbranch_execnz .LBB3_58
; %bb.59:                               ;   in Loop: Header=BB3_31 Depth=1
	s_or_b32 exec_lo, exec_lo, s6
.LBB3_60:                               ;   in Loop: Header=BB3_31 Depth=1
	s_delay_alu instid0(SALU_CYCLE_1)
	s_or_b32 exec_lo, exec_lo, s5
	s_mov_b32 s1, 0
                                        ; implicit-def: $vgpr18
.LBB3_61:                               ;   in Loop: Header=BB3_31 Depth=1
	s_or_saveexec_b32 s0, s4
	v_mov_b32_e32 v20, s1
	s_xor_b32 exec_lo, exec_lo, s0
	s_cbranch_execz .LBB3_63
; %bb.62:                               ;   in Loop: Header=BB3_31 Depth=1
	scratch_load_b64 v[16:17], v8, off
	v_add_nc_u32_e32 v8, 8, v8
	s_waitcnt vmcnt(0)
	v_and_b32_e32 v19, 0xff, v17
	v_and_b32_e32 v20, 0xff00, v17
	;; [unrolled: 1-line block ×4, first 2 shown]
	v_or3_b32 v16, v16, 0, 0
	s_delay_alu instid0(VALU_DEP_4) | instskip(SKIP_1) | instid1(VALU_DEP_2)
	v_or_b32_e32 v19, v19, v20
	v_add_nc_u32_e32 v20, -8, v18
	v_or3_b32 v17, v19, v21, v17
.LBB3_63:                               ;   in Loop: Header=BB3_31 Depth=1
	s_or_b32 exec_lo, exec_lo, s0
                                        ; implicit-def: $sgpr1
	s_delay_alu instid0(SALU_CYCLE_1) | instskip(NEXT) | instid1(VALU_DEP_1)
	s_mov_b32 s0, exec_lo
	v_cmpx_gt_u32_e32 8, v20
	s_xor_b32 s4, exec_lo, s0
	s_cbranch_execz .LBB3_69
; %bb.64:                               ;   in Loop: Header=BB3_31 Depth=1
	v_mov_b32_e32 v18, 0
	v_mov_b32_e32 v19, 0
	s_mov_b32 s5, exec_lo
	v_cmpx_ne_u32_e32 0, v20
	s_cbranch_execz .LBB3_68
; %bb.65:                               ;   in Loop: Header=BB3_31 Depth=1
	v_mov_b32_e32 v18, 0
	v_mov_b32_e32 v19, 0
	s_mov_b64 s[0:1], 0
	s_mov_b32 s6, 0
	s_mov_b32 s7, 0
	.p2align	6
.LBB3_66:                               ;   Parent Loop BB3_31 Depth=1
                                        ; =>  This Inner Loop Header: Depth=2
	s_delay_alu instid0(SALU_CYCLE_1) | instskip(SKIP_1) | instid1(SALU_CYCLE_1)
	v_dual_mov_b32 v22, s11 :: v_dual_add_nc_u32 v21, s7, v8
	s_add_i32 s7, s7, 1
	v_cmp_eq_u32_e32 vcc_lo, s7, v20
	scratch_load_u8 v21, v21, off
	s_waitcnt vmcnt(0)
	v_and_b32_e32 v21, 0xffff, v21
	s_delay_alu instid0(VALU_DEP_1) | instskip(SKIP_3) | instid1(VALU_DEP_1)
	v_lshlrev_b64 v[21:22], s0, v[21:22]
	s_add_u32 s0, s0, 8
	s_addc_u32 s1, s1, 0
	s_or_b32 s6, vcc_lo, s6
	v_or_b32_e32 v19, v22, v19
	s_delay_alu instid0(VALU_DEP_2)
	v_or_b32_e32 v18, v21, v18
	s_and_not1_b32 exec_lo, exec_lo, s6
	s_cbranch_execnz .LBB3_66
; %bb.67:                               ;   in Loop: Header=BB3_31 Depth=1
	s_or_b32 exec_lo, exec_lo, s6
.LBB3_68:                               ;   in Loop: Header=BB3_31 Depth=1
	s_delay_alu instid0(SALU_CYCLE_1)
	s_or_b32 exec_lo, exec_lo, s5
	s_mov_b32 s1, 0
                                        ; implicit-def: $vgpr20
.LBB3_69:                               ;   in Loop: Header=BB3_31 Depth=1
	s_or_saveexec_b32 s0, s4
	v_mov_b32_e32 v22, s1
	s_xor_b32 exec_lo, exec_lo, s0
	s_cbranch_execz .LBB3_71
; %bb.70:                               ;   in Loop: Header=BB3_31 Depth=1
	scratch_load_b64 v[18:19], v8, off
	v_add_nc_u32_e32 v8, 8, v8
	s_waitcnt vmcnt(0)
	v_and_b32_e32 v21, 0xff, v19
	v_and_b32_e32 v22, 0xff00, v19
	;; [unrolled: 1-line block ×4, first 2 shown]
	v_or3_b32 v18, v18, 0, 0
	s_delay_alu instid0(VALU_DEP_4) | instskip(SKIP_1) | instid1(VALU_DEP_2)
	v_or_b32_e32 v21, v21, v22
	v_add_nc_u32_e32 v22, -8, v20
	v_or3_b32 v19, v21, v23, v19
.LBB3_71:                               ;   in Loop: Header=BB3_31 Depth=1
	s_or_b32 exec_lo, exec_lo, s0
                                        ; implicit-def: $vgpr20_vgpr21
                                        ; implicit-def: $sgpr1
	s_delay_alu instid0(SALU_CYCLE_1) | instskip(NEXT) | instid1(VALU_DEP_1)
	s_mov_b32 s0, exec_lo
	v_cmpx_gt_u32_e32 8, v22
	s_xor_b32 s4, exec_lo, s0
	s_cbranch_execz .LBB3_77
; %bb.72:                               ;   in Loop: Header=BB3_31 Depth=1
	v_mov_b32_e32 v20, 0
	v_mov_b32_e32 v21, 0
	s_mov_b32 s5, exec_lo
	v_cmpx_ne_u32_e32 0, v22
	s_cbranch_execz .LBB3_76
; %bb.73:                               ;   in Loop: Header=BB3_31 Depth=1
	v_mov_b32_e32 v20, 0
	v_mov_b32_e32 v21, 0
	s_mov_b64 s[0:1], 0
	s_mov_b32 s6, 0
	s_mov_b32 s7, 0
	.p2align	6
.LBB3_74:                               ;   Parent Loop BB3_31 Depth=1
                                        ; =>  This Inner Loop Header: Depth=2
	s_delay_alu instid0(SALU_CYCLE_1) | instskip(SKIP_1) | instid1(SALU_CYCLE_1)
	v_dual_mov_b32 v24, s11 :: v_dual_add_nc_u32 v23, s7, v8
	s_add_i32 s7, s7, 1
	v_cmp_eq_u32_e32 vcc_lo, s7, v22
	scratch_load_u8 v23, v23, off
	s_waitcnt vmcnt(0)
	v_and_b32_e32 v23, 0xffff, v23
	s_delay_alu instid0(VALU_DEP_1) | instskip(SKIP_3) | instid1(VALU_DEP_1)
	v_lshlrev_b64 v[23:24], s0, v[23:24]
	s_add_u32 s0, s0, 8
	s_addc_u32 s1, s1, 0
	s_or_b32 s6, vcc_lo, s6
	v_or_b32_e32 v21, v24, v21
	s_delay_alu instid0(VALU_DEP_2)
	v_or_b32_e32 v20, v23, v20
	s_and_not1_b32 exec_lo, exec_lo, s6
	s_cbranch_execnz .LBB3_74
; %bb.75:                               ;   in Loop: Header=BB3_31 Depth=1
	s_or_b32 exec_lo, exec_lo, s6
.LBB3_76:                               ;   in Loop: Header=BB3_31 Depth=1
	s_delay_alu instid0(SALU_CYCLE_1)
	s_or_b32 exec_lo, exec_lo, s5
	s_mov_b32 s1, 0
                                        ; implicit-def: $vgpr22
.LBB3_77:                               ;   in Loop: Header=BB3_31 Depth=1
	s_or_saveexec_b32 s0, s4
	v_mov_b32_e32 v24, s1
	s_xor_b32 exec_lo, exec_lo, s0
	s_cbranch_execz .LBB3_79
; %bb.78:                               ;   in Loop: Header=BB3_31 Depth=1
	scratch_load_b64 v[20:21], v8, off
	v_add_nc_u32_e32 v8, 8, v8
	s_waitcnt vmcnt(0)
	v_and_b32_e32 v23, 0xff, v21
	v_and_b32_e32 v24, 0xff00, v21
	;; [unrolled: 1-line block ×4, first 2 shown]
	v_or3_b32 v20, v20, 0, 0
	s_delay_alu instid0(VALU_DEP_4) | instskip(SKIP_1) | instid1(VALU_DEP_2)
	v_or_b32_e32 v23, v23, v24
	v_add_nc_u32_e32 v24, -8, v22
	v_or3_b32 v21, v23, v25, v21
.LBB3_79:                               ;   in Loop: Header=BB3_31 Depth=1
	s_or_b32 exec_lo, exec_lo, s0
	s_delay_alu instid0(SALU_CYCLE_1) | instskip(NEXT) | instid1(VALU_DEP_1)
	s_mov_b32 s0, exec_lo
	v_cmpx_gt_u32_e32 8, v24
	s_xor_b32 s4, exec_lo, s0
	s_cbranch_execz .LBB3_85
; %bb.80:                               ;   in Loop: Header=BB3_31 Depth=1
	v_mov_b32_e32 v22, 0
	v_mov_b32_e32 v23, 0
	s_mov_b32 s5, exec_lo
	v_cmpx_ne_u32_e32 0, v24
	s_cbranch_execz .LBB3_84
; %bb.81:                               ;   in Loop: Header=BB3_31 Depth=1
	v_mov_b32_e32 v22, 0
	v_mov_b32_e32 v23, 0
	s_mov_b64 s[0:1], 0
	s_mov_b32 s6, 0
	.p2align	6
.LBB3_82:                               ;   Parent Loop BB3_31 Depth=1
                                        ; =>  This Inner Loop Header: Depth=2
	scratch_load_u8 v25, v8, off
	v_mov_b32_e32 v26, s11
	v_add_nc_u32_e32 v24, -1, v24
	v_add_nc_u32_e32 v8, 1, v8
	s_delay_alu instid0(VALU_DEP_2) | instskip(SKIP_2) | instid1(VALU_DEP_1)
	v_cmp_eq_u32_e32 vcc_lo, 0, v24
	s_waitcnt vmcnt(0)
	v_and_b32_e32 v25, 0xffff, v25
	v_lshlrev_b64 v[25:26], s0, v[25:26]
	s_add_u32 s0, s0, 8
	s_addc_u32 s1, s1, 0
	s_or_b32 s6, vcc_lo, s6
	s_delay_alu instid0(VALU_DEP_1) | instskip(NEXT) | instid1(VALU_DEP_2)
	v_or_b32_e32 v23, v26, v23
	v_or_b32_e32 v22, v25, v22
	s_and_not1_b32 exec_lo, exec_lo, s6
	s_cbranch_execnz .LBB3_82
; %bb.83:                               ;   in Loop: Header=BB3_31 Depth=1
	s_or_b32 exec_lo, exec_lo, s6
.LBB3_84:                               ;   in Loop: Header=BB3_31 Depth=1
	s_delay_alu instid0(SALU_CYCLE_1)
	s_or_b32 exec_lo, exec_lo, s5
                                        ; implicit-def: $vgpr8
.LBB3_85:                               ;   in Loop: Header=BB3_31 Depth=1
	s_and_not1_saveexec_b32 s0, s4
	s_cbranch_execz .LBB3_87
; %bb.86:                               ;   in Loop: Header=BB3_31 Depth=1
	scratch_load_b64 v[22:23], v8, off
	s_waitcnt vmcnt(0)
	v_and_b32_e32 v8, 0xff, v23
	v_and_b32_e32 v24, 0xff00, v23
	;; [unrolled: 1-line block ×4, first 2 shown]
	v_or3_b32 v22, v22, 0, 0
	s_delay_alu instid0(VALU_DEP_4) | instskip(NEXT) | instid1(VALU_DEP_1)
	v_or_b32_e32 v8, v8, v24
	v_or3_b32 v23, v8, v25, v23
.LBB3_87:                               ;   in Loop: Header=BB3_31 Depth=1
	s_or_b32 exec_lo, exec_lo, s0
	v_readfirstlane_b32 s0, v35
	v_mov_b32_e32 v32, 0
	v_mov_b32_e32 v33, 0
	s_delay_alu instid0(VALU_DEP_3) | instskip(NEXT) | instid1(VALU_DEP_1)
	v_cmp_eq_u32_e64 s0, s0, v35
	s_and_saveexec_b32 s1, s0
	s_cbranch_execz .LBB3_93
; %bb.88:                               ;   in Loop: Header=BB3_31 Depth=1
	global_load_b64 v[26:27], v9, s[2:3] offset:24 glc
	s_waitcnt vmcnt(0)
	buffer_gl1_inv
	buffer_gl0_inv
	s_clause 0x1
	global_load_b64 v[24:25], v9, s[2:3] offset:40
	global_load_b64 v[32:33], v9, s[2:3]
	s_mov_b32 s4, exec_lo
	s_waitcnt vmcnt(1)
	v_and_b32_e32 v8, v25, v27
	v_and_b32_e32 v24, v24, v26
	s_delay_alu instid0(VALU_DEP_2) | instskip(NEXT) | instid1(VALU_DEP_2)
	v_mul_lo_u32 v8, v8, 24
	v_mul_hi_u32 v25, v24, 24
	v_mul_lo_u32 v24, v24, 24
	s_delay_alu instid0(VALU_DEP_2) | instskip(SKIP_1) | instid1(VALU_DEP_2)
	v_add_nc_u32_e32 v8, v25, v8
	s_waitcnt vmcnt(0)
	v_add_co_u32 v24, vcc_lo, v32, v24
	s_delay_alu instid0(VALU_DEP_2)
	v_add_co_ci_u32_e32 v25, vcc_lo, v33, v8, vcc_lo
	global_load_b64 v[24:25], v[24:25], off glc
	s_waitcnt vmcnt(0)
	global_atomic_cmpswap_b64 v[32:33], v9, v[24:27], s[2:3] offset:24 glc
	s_waitcnt vmcnt(0)
	buffer_gl1_inv
	buffer_gl0_inv
	v_cmpx_ne_u64_e64 v[32:33], v[26:27]
	s_cbranch_execz .LBB3_92
; %bb.89:                               ;   in Loop: Header=BB3_31 Depth=1
	s_mov_b32 s5, 0
	.p2align	6
.LBB3_90:                               ;   Parent Loop BB3_31 Depth=1
                                        ; =>  This Inner Loop Header: Depth=2
	s_sleep 1
	s_clause 0x1
	global_load_b64 v[24:25], v9, s[2:3] offset:40
	global_load_b64 v[38:39], v9, s[2:3]
	v_dual_mov_b32 v26, v32 :: v_dual_mov_b32 v27, v33
	s_waitcnt vmcnt(1)
	s_delay_alu instid0(VALU_DEP_1) | instskip(SKIP_1) | instid1(VALU_DEP_1)
	v_and_b32_e32 v8, v24, v26
	s_waitcnt vmcnt(0)
	v_mad_u64_u32 v[32:33], null, v8, 24, v[38:39]
	v_and_b32_e32 v38, v25, v27
	s_delay_alu instid0(VALU_DEP_2) | instskip(NEXT) | instid1(VALU_DEP_1)
	v_mov_b32_e32 v8, v33
	v_mad_u64_u32 v[24:25], null, v38, 24, v[8:9]
	s_delay_alu instid0(VALU_DEP_1)
	v_mov_b32_e32 v33, v24
	global_load_b64 v[24:25], v[32:33], off glc
	s_waitcnt vmcnt(0)
	global_atomic_cmpswap_b64 v[32:33], v9, v[24:27], s[2:3] offset:24 glc
	s_waitcnt vmcnt(0)
	buffer_gl1_inv
	buffer_gl0_inv
	v_cmp_eq_u64_e32 vcc_lo, v[32:33], v[26:27]
	s_or_b32 s5, vcc_lo, s5
	s_delay_alu instid0(SALU_CYCLE_1)
	s_and_not1_b32 exec_lo, exec_lo, s5
	s_cbranch_execnz .LBB3_90
; %bb.91:                               ;   in Loop: Header=BB3_31 Depth=1
	s_or_b32 exec_lo, exec_lo, s5
.LBB3_92:                               ;   in Loop: Header=BB3_31 Depth=1
	s_delay_alu instid0(SALU_CYCLE_1)
	s_or_b32 exec_lo, exec_lo, s4
.LBB3_93:                               ;   in Loop: Header=BB3_31 Depth=1
	s_delay_alu instid0(SALU_CYCLE_1)
	s_or_b32 exec_lo, exec_lo, s1
	s_clause 0x1
	global_load_b64 v[38:39], v9, s[2:3] offset:40
	global_load_b128 v[24:27], v9, s[2:3]
	v_readfirstlane_b32 s4, v32
	v_readfirstlane_b32 s5, v33
	s_mov_b32 s1, exec_lo
	s_waitcnt vmcnt(1)
	v_readfirstlane_b32 s6, v38
	v_readfirstlane_b32 s7, v39
	s_delay_alu instid0(VALU_DEP_1) | instskip(NEXT) | instid1(SALU_CYCLE_1)
	s_and_b64 s[6:7], s[4:5], s[6:7]
	s_mul_i32 s12, s7, 24
	s_mul_hi_u32 s13, s6, 24
	s_mul_i32 s14, s6, 24
	s_add_i32 s13, s13, s12
	s_waitcnt vmcnt(0)
	v_add_co_u32 v32, vcc_lo, v24, s14
	v_add_co_ci_u32_e32 v33, vcc_lo, s13, v25, vcc_lo
	s_and_saveexec_b32 s12, s0
	s_cbranch_execz .LBB3_95
; %bb.94:                               ;   in Loop: Header=BB3_31 Depth=1
	v_mov_b32_e32 v8, s1
	global_store_b128 v[32:33], v[8:11], off offset:8
.LBB3_95:                               ;   in Loop: Header=BB3_31 Depth=1
	s_or_b32 exec_lo, exec_lo, s12
	v_cmp_lt_u64_e32 vcc_lo, 56, v[28:29]
	v_or_b32_e32 v8, 0, v1
	v_or_b32_e32 v38, v0, v36
	v_lshl_add_u32 v39, v30, 2, 28
	s_lshl_b64 s[6:7], s[6:7], 12
	s_delay_alu instid0(SALU_CYCLE_1) | instskip(NEXT) | instid1(VALU_DEP_1)
	v_add_co_u32 v26, s1, v26, s6
	v_add_co_ci_u32_e64 v27, s1, s7, v27, s1
	v_dual_cndmask_b32 v1, v8, v1 :: v_dual_cndmask_b32 v0, v38, v0
	v_and_b32_e32 v8, 0x1e0, v39
	s_delay_alu instid0(VALU_DEP_4) | instskip(NEXT) | instid1(VALU_DEP_4)
	v_readfirstlane_b32 s6, v26
	v_readfirstlane_b32 s7, v27
	s_delay_alu instid0(VALU_DEP_3)
	v_and_or_b32 v0, 0xffffff1f, v0, v8
	s_clause 0x3
	global_store_b128 v34, v[0:3], s[6:7]
	global_store_b128 v34, v[12:15], s[6:7] offset:16
	global_store_b128 v34, v[16:19], s[6:7] offset:32
	;; [unrolled: 1-line block ×3, first 2 shown]
	s_and_saveexec_b32 s1, s0
	s_cbranch_execz .LBB3_103
; %bb.96:                               ;   in Loop: Header=BB3_31 Depth=1
	s_clause 0x1
	global_load_b64 v[16:17], v9, s[2:3] offset:32 glc
	global_load_b64 v[0:1], v9, s[2:3] offset:40
	v_dual_mov_b32 v14, s4 :: v_dual_mov_b32 v15, s5
	s_waitcnt vmcnt(0)
	v_readfirstlane_b32 s6, v0
	v_readfirstlane_b32 s7, v1
	s_delay_alu instid0(VALU_DEP_1) | instskip(NEXT) | instid1(SALU_CYCLE_1)
	s_and_b64 s[6:7], s[6:7], s[4:5]
	s_mul_i32 s7, s7, 24
	s_mul_hi_u32 s12, s6, 24
	s_mul_i32 s6, s6, 24
	s_add_i32 s12, s12, s7
	v_add_co_u32 v12, vcc_lo, v24, s6
	v_add_co_ci_u32_e32 v13, vcc_lo, s12, v25, vcc_lo
	s_mov_b32 s6, exec_lo
	global_store_b64 v[12:13], v[16:17], off
	s_waitcnt_vscnt null, 0x0
	global_atomic_cmpswap_b64 v[2:3], v9, v[14:17], s[2:3] offset:32 glc
	s_waitcnt vmcnt(0)
	v_cmpx_ne_u64_e64 v[2:3], v[16:17]
	s_cbranch_execz .LBB3_99
; %bb.97:                               ;   in Loop: Header=BB3_31 Depth=1
	s_mov_b32 s7, 0
.LBB3_98:                               ;   Parent Loop BB3_31 Depth=1
                                        ; =>  This Inner Loop Header: Depth=2
	v_dual_mov_b32 v0, s4 :: v_dual_mov_b32 v1, s5
	s_sleep 1
	global_store_b64 v[12:13], v[2:3], off
	s_waitcnt_vscnt null, 0x0
	global_atomic_cmpswap_b64 v[0:1], v9, v[0:3], s[2:3] offset:32 glc
	s_waitcnt vmcnt(0)
	v_cmp_eq_u64_e32 vcc_lo, v[0:1], v[2:3]
	v_dual_mov_b32 v3, v1 :: v_dual_mov_b32 v2, v0
	s_or_b32 s7, vcc_lo, s7
	s_delay_alu instid0(SALU_CYCLE_1)
	s_and_not1_b32 exec_lo, exec_lo, s7
	s_cbranch_execnz .LBB3_98
.LBB3_99:                               ;   in Loop: Header=BB3_31 Depth=1
	s_or_b32 exec_lo, exec_lo, s6
	global_load_b64 v[0:1], v9, s[2:3] offset:16
	s_mov_b32 s7, exec_lo
	s_mov_b32 s6, exec_lo
	v_mbcnt_lo_u32_b32 v2, s7, 0
	s_delay_alu instid0(VALU_DEP_1)
	v_cmpx_eq_u32_e32 0, v2
	s_cbranch_execz .LBB3_101
; %bb.100:                              ;   in Loop: Header=BB3_31 Depth=1
	s_bcnt1_i32_b32 s7, s7
	s_delay_alu instid0(SALU_CYCLE_1)
	v_mov_b32_e32 v8, s7
	s_waitcnt vmcnt(0)
	global_atomic_add_u64 v[0:1], v[8:9], off offset:8
.LBB3_101:                              ;   in Loop: Header=BB3_31 Depth=1
	s_or_b32 exec_lo, exec_lo, s6
	s_waitcnt vmcnt(0)
	global_load_b64 v[2:3], v[0:1], off offset:16
	s_waitcnt vmcnt(0)
	v_cmp_eq_u64_e32 vcc_lo, 0, v[2:3]
	s_cbranch_vccnz .LBB3_103
; %bb.102:                              ;   in Loop: Header=BB3_31 Depth=1
	global_load_b32 v8, v[0:1], off offset:24
	s_waitcnt vmcnt(0)
	v_and_b32_e32 v0, 0xffffff, v8
	s_waitcnt_vscnt null, 0x0
	global_store_b64 v[2:3], v[8:9], off
	v_readfirstlane_b32 m0, v0
	s_sendmsg sendmsg(MSG_INTERRUPT)
.LBB3_103:                              ;   in Loop: Header=BB3_31 Depth=1
	s_or_b32 exec_lo, exec_lo, s1
	v_add_co_u32 v0, vcc_lo, v26, v34
	v_add_co_ci_u32_e32 v1, vcc_lo, 0, v27, vcc_lo
	s_branch .LBB3_107
	.p2align	6
.LBB3_104:                              ;   in Loop: Header=BB3_107 Depth=2
	s_or_b32 exec_lo, exec_lo, s1
	s_delay_alu instid0(VALU_DEP_1) | instskip(NEXT) | instid1(VALU_DEP_1)
	v_readfirstlane_b32 s1, v2
	s_cmp_eq_u32 s1, 0
	s_cbranch_scc1 .LBB3_106
; %bb.105:                              ;   in Loop: Header=BB3_107 Depth=2
	s_sleep 1
	s_cbranch_execnz .LBB3_107
	s_branch .LBB3_109
	.p2align	6
.LBB3_106:                              ;   in Loop: Header=BB3_31 Depth=1
	s_branch .LBB3_109
.LBB3_107:                              ;   Parent Loop BB3_31 Depth=1
                                        ; =>  This Inner Loop Header: Depth=2
	v_mov_b32_e32 v2, 1
	s_and_saveexec_b32 s1, s0
	s_cbranch_execz .LBB3_104
; %bb.108:                              ;   in Loop: Header=BB3_107 Depth=2
	global_load_b32 v2, v[32:33], off offset:20 glc
	s_waitcnt vmcnt(0)
	buffer_gl1_inv
	buffer_gl0_inv
	v_and_b32_e32 v2, 1, v2
	s_branch .LBB3_104
.LBB3_109:                              ;   in Loop: Header=BB3_31 Depth=1
	global_load_b128 v[0:3], v[0:1], off
	s_and_saveexec_b32 s1, s0
	s_cbranch_execz .LBB3_30
; %bb.110:                              ;   in Loop: Header=BB3_31 Depth=1
	s_clause 0x2
	global_load_b64 v[2:3], v9, s[2:3] offset:40
	global_load_b64 v[16:17], v9, s[2:3] offset:24 glc
	global_load_b64 v[14:15], v9, s[2:3]
	s_waitcnt vmcnt(2)
	v_add_co_u32 v8, vcc_lo, v2, 1
	v_add_co_ci_u32_e32 v18, vcc_lo, 0, v3, vcc_lo
	s_delay_alu instid0(VALU_DEP_2) | instskip(NEXT) | instid1(VALU_DEP_2)
	v_add_co_u32 v12, vcc_lo, v8, s4
	v_add_co_ci_u32_e32 v13, vcc_lo, s5, v18, vcc_lo
	s_delay_alu instid0(VALU_DEP_1) | instskip(SKIP_1) | instid1(VALU_DEP_1)
	v_cmp_eq_u64_e32 vcc_lo, 0, v[12:13]
	v_dual_cndmask_b32 v13, v13, v18 :: v_dual_cndmask_b32 v12, v12, v8
	v_and_b32_e32 v3, v13, v3
	s_delay_alu instid0(VALU_DEP_2) | instskip(NEXT) | instid1(VALU_DEP_1)
	v_and_b32_e32 v2, v12, v2
	v_mul_hi_u32 v8, v2, 24
	v_mul_lo_u32 v2, v2, 24
	s_waitcnt vmcnt(0)
	s_delay_alu instid0(VALU_DEP_1) | instskip(SKIP_2) | instid1(VALU_DEP_1)
	v_add_co_u32 v2, vcc_lo, v14, v2
	v_mov_b32_e32 v14, v16
	v_mul_lo_u32 v3, v3, 24
	v_add_nc_u32_e32 v3, v8, v3
	s_delay_alu instid0(VALU_DEP_1)
	v_add_co_ci_u32_e32 v3, vcc_lo, v15, v3, vcc_lo
	v_mov_b32_e32 v15, v17
	global_store_b64 v[2:3], v[16:17], off
	s_waitcnt_vscnt null, 0x0
	global_atomic_cmpswap_b64 v[14:15], v9, v[12:15], s[2:3] offset:24 glc
	s_waitcnt vmcnt(0)
	v_cmp_ne_u64_e32 vcc_lo, v[14:15], v[16:17]
	s_and_b32 exec_lo, exec_lo, vcc_lo
	s_cbranch_execz .LBB3_30
; %bb.111:                              ;   in Loop: Header=BB3_31 Depth=1
	s_mov_b32 s0, 0
.LBB3_112:                              ;   Parent Loop BB3_31 Depth=1
                                        ; =>  This Inner Loop Header: Depth=2
	s_sleep 1
	global_store_b64 v[2:3], v[14:15], off
	s_waitcnt_vscnt null, 0x0
	global_atomic_cmpswap_b64 v[16:17], v9, v[12:15], s[2:3] offset:24 glc
	s_waitcnt vmcnt(0)
	v_cmp_eq_u64_e32 vcc_lo, v[16:17], v[14:15]
	v_dual_mov_b32 v14, v16 :: v_dual_mov_b32 v15, v17
	s_or_b32 s0, vcc_lo, s0
	s_delay_alu instid0(SALU_CYCLE_1)
	s_and_not1_b32 exec_lo, exec_lo, s0
	s_cbranch_execnz .LBB3_112
	s_branch .LBB3_30
.LBB3_113:
                                        ; implicit-def: $vgpr0_vgpr1
	s_cbranch_execnz .LBB3_115
	s_branch .LBB3_142
.LBB3_114:
	s_or_b32 exec_lo, exec_lo, s10
	s_branch .LBB3_142
.LBB3_115:
	v_readfirstlane_b32 s0, v35
	v_mov_b32_e32 v9, 0
	v_mov_b32_e32 v10, 0
	s_delay_alu instid0(VALU_DEP_3) | instskip(NEXT) | instid1(VALU_DEP_1)
	v_cmp_eq_u32_e64 s0, s0, v35
	s_and_saveexec_b32 s1, s0
	s_cbranch_execz .LBB3_121
; %bb.116:
	s_waitcnt vmcnt(0)
	v_mov_b32_e32 v0, 0
	s_mov_b32 s4, exec_lo
	global_load_b64 v[11:12], v0, s[2:3] offset:24 glc
	s_waitcnt vmcnt(0)
	buffer_gl1_inv
	buffer_gl0_inv
	s_clause 0x1
	global_load_b64 v[1:2], v0, s[2:3] offset:40
	global_load_b64 v[8:9], v0, s[2:3]
	s_waitcnt vmcnt(1)
	v_and_b32_e32 v1, v1, v11
	v_and_b32_e32 v2, v2, v12
	s_delay_alu instid0(VALU_DEP_2) | instskip(NEXT) | instid1(VALU_DEP_2)
	v_mul_hi_u32 v3, v1, 24
	v_mul_lo_u32 v2, v2, 24
	v_mul_lo_u32 v1, v1, 24
	s_delay_alu instid0(VALU_DEP_2) | instskip(SKIP_1) | instid1(VALU_DEP_2)
	v_add_nc_u32_e32 v2, v3, v2
	s_waitcnt vmcnt(0)
	v_add_co_u32 v1, vcc_lo, v8, v1
	s_delay_alu instid0(VALU_DEP_2)
	v_add_co_ci_u32_e32 v2, vcc_lo, v9, v2, vcc_lo
	global_load_b64 v[9:10], v[1:2], off glc
	s_waitcnt vmcnt(0)
	global_atomic_cmpswap_b64 v[9:10], v0, v[9:12], s[2:3] offset:24 glc
	s_waitcnt vmcnt(0)
	buffer_gl1_inv
	buffer_gl0_inv
	v_cmpx_ne_u64_e64 v[9:10], v[11:12]
	s_cbranch_execz .LBB3_120
; %bb.117:
	s_mov_b32 s5, 0
	.p2align	6
.LBB3_118:                              ; =>This Inner Loop Header: Depth=1
	s_sleep 1
	s_clause 0x1
	global_load_b64 v[1:2], v0, s[2:3] offset:40
	global_load_b64 v[13:14], v0, s[2:3]
	v_dual_mov_b32 v12, v10 :: v_dual_mov_b32 v11, v9
	s_waitcnt vmcnt(1)
	s_delay_alu instid0(VALU_DEP_1) | instskip(SKIP_1) | instid1(VALU_DEP_1)
	v_and_b32_e32 v1, v1, v11
	s_waitcnt vmcnt(0)
	v_mad_u64_u32 v[8:9], null, v1, 24, v[13:14]
	s_delay_alu instid0(VALU_DEP_1) | instskip(NEXT) | instid1(VALU_DEP_1)
	v_dual_mov_b32 v1, v9 :: v_dual_and_b32 v10, v2, v12
	v_mad_u64_u32 v[2:3], null, v10, 24, v[1:2]
	s_delay_alu instid0(VALU_DEP_1)
	v_mov_b32_e32 v9, v2
	global_load_b64 v[9:10], v[8:9], off glc
	s_waitcnt vmcnt(0)
	global_atomic_cmpswap_b64 v[9:10], v0, v[9:12], s[2:3] offset:24 glc
	s_waitcnt vmcnt(0)
	buffer_gl1_inv
	buffer_gl0_inv
	v_cmp_eq_u64_e32 vcc_lo, v[9:10], v[11:12]
	s_or_b32 s5, vcc_lo, s5
	s_delay_alu instid0(SALU_CYCLE_1)
	s_and_not1_b32 exec_lo, exec_lo, s5
	s_cbranch_execnz .LBB3_118
; %bb.119:
	s_or_b32 exec_lo, exec_lo, s5
.LBB3_120:
	s_delay_alu instid0(SALU_CYCLE_1)
	s_or_b32 exec_lo, exec_lo, s4
.LBB3_121:
	s_delay_alu instid0(SALU_CYCLE_1)
	s_or_b32 exec_lo, exec_lo, s1
	v_mov_b32_e32 v8, 0
	v_readfirstlane_b32 s4, v9
	v_readfirstlane_b32 s5, v10
	s_mov_b32 s1, exec_lo
	s_clause 0x1
	global_load_b64 v[11:12], v8, s[2:3] offset:40
	global_load_b128 v[0:3], v8, s[2:3]
	s_waitcnt vmcnt(1)
	v_readfirstlane_b32 s6, v11
	v_readfirstlane_b32 s7, v12
	s_delay_alu instid0(VALU_DEP_1) | instskip(NEXT) | instid1(SALU_CYCLE_1)
	s_and_b64 s[6:7], s[4:5], s[6:7]
	s_mul_i32 s10, s7, 24
	s_mul_hi_u32 s11, s6, 24
	s_mul_i32 s12, s6, 24
	s_add_i32 s11, s11, s10
	s_waitcnt vmcnt(0)
	v_add_co_u32 v10, vcc_lo, v0, s12
	v_add_co_ci_u32_e32 v11, vcc_lo, s11, v1, vcc_lo
	s_and_saveexec_b32 s10, s0
	s_cbranch_execz .LBB3_123
; %bb.122:
	v_dual_mov_b32 v12, s1 :: v_dual_mov_b32 v13, v8
	v_dual_mov_b32 v14, 2 :: v_dual_mov_b32 v15, 1
	global_store_b128 v[10:11], v[12:15], off offset:8
.LBB3_123:
	s_or_b32 exec_lo, exec_lo, s10
	s_lshl_b64 s[6:7], s[6:7], 12
	s_mov_b32 s12, 0
	v_add_co_u32 v2, vcc_lo, v2, s6
	v_add_co_ci_u32_e32 v3, vcc_lo, s7, v3, vcc_lo
	s_mov_b32 s15, s12
	s_delay_alu instid0(VALU_DEP_2)
	v_add_co_u32 v12, vcc_lo, v2, v34
	s_mov_b32 s13, s12
	s_mov_b32 s14, s12
	v_and_or_b32 v6, 0xffffff1f, v6, 32
	v_mov_b32_e32 v9, v8
	v_readfirstlane_b32 s6, v2
	v_readfirstlane_b32 s7, v3
	v_dual_mov_b32 v17, s15 :: v_dual_mov_b32 v14, s12
	v_add_co_ci_u32_e32 v13, vcc_lo, 0, v3, vcc_lo
	v_dual_mov_b32 v16, s14 :: v_dual_mov_b32 v15, s13
	s_clause 0x3
	global_store_b128 v34, v[6:9], s[6:7]
	global_store_b128 v34, v[14:17], s[6:7] offset:16
	global_store_b128 v34, v[14:17], s[6:7] offset:32
	;; [unrolled: 1-line block ×3, first 2 shown]
	s_and_saveexec_b32 s1, s0
	s_cbranch_execz .LBB3_131
; %bb.124:
	v_dual_mov_b32 v8, 0 :: v_dual_mov_b32 v15, s5
	v_mov_b32_e32 v14, s4
	s_clause 0x1
	global_load_b64 v[16:17], v8, s[2:3] offset:32 glc
	global_load_b64 v[2:3], v8, s[2:3] offset:40
	s_waitcnt vmcnt(0)
	v_readfirstlane_b32 s6, v2
	v_readfirstlane_b32 s7, v3
	s_delay_alu instid0(VALU_DEP_1) | instskip(NEXT) | instid1(SALU_CYCLE_1)
	s_and_b64 s[6:7], s[6:7], s[4:5]
	s_mul_i32 s7, s7, 24
	s_mul_hi_u32 s10, s6, 24
	s_mul_i32 s6, s6, 24
	s_add_i32 s10, s10, s7
	v_add_co_u32 v6, vcc_lo, v0, s6
	v_add_co_ci_u32_e32 v7, vcc_lo, s10, v1, vcc_lo
	s_mov_b32 s6, exec_lo
	global_store_b64 v[6:7], v[16:17], off
	s_waitcnt_vscnt null, 0x0
	global_atomic_cmpswap_b64 v[2:3], v8, v[14:17], s[2:3] offset:32 glc
	s_waitcnt vmcnt(0)
	v_cmpx_ne_u64_e64 v[2:3], v[16:17]
	s_cbranch_execz .LBB3_127
; %bb.125:
	s_mov_b32 s7, 0
.LBB3_126:                              ; =>This Inner Loop Header: Depth=1
	v_dual_mov_b32 v0, s4 :: v_dual_mov_b32 v1, s5
	s_sleep 1
	global_store_b64 v[6:7], v[2:3], off
	s_waitcnt_vscnt null, 0x0
	global_atomic_cmpswap_b64 v[0:1], v8, v[0:3], s[2:3] offset:32 glc
	s_waitcnt vmcnt(0)
	v_cmp_eq_u64_e32 vcc_lo, v[0:1], v[2:3]
	v_dual_mov_b32 v3, v1 :: v_dual_mov_b32 v2, v0
	s_or_b32 s7, vcc_lo, s7
	s_delay_alu instid0(SALU_CYCLE_1)
	s_and_not1_b32 exec_lo, exec_lo, s7
	s_cbranch_execnz .LBB3_126
.LBB3_127:
	s_or_b32 exec_lo, exec_lo, s6
	v_mov_b32_e32 v3, 0
	s_mov_b32 s7, exec_lo
	s_mov_b32 s6, exec_lo
	v_mbcnt_lo_u32_b32 v2, s7, 0
	global_load_b64 v[0:1], v3, s[2:3] offset:16
	v_cmpx_eq_u32_e32 0, v2
	s_cbranch_execz .LBB3_129
; %bb.128:
	s_bcnt1_i32_b32 s7, s7
	s_delay_alu instid0(SALU_CYCLE_1)
	v_mov_b32_e32 v2, s7
	s_waitcnt vmcnt(0)
	global_atomic_add_u64 v[0:1], v[2:3], off offset:8
.LBB3_129:
	s_or_b32 exec_lo, exec_lo, s6
	s_waitcnt vmcnt(0)
	global_load_b64 v[2:3], v[0:1], off offset:16
	s_waitcnt vmcnt(0)
	v_cmp_eq_u64_e32 vcc_lo, 0, v[2:3]
	s_cbranch_vccnz .LBB3_131
; %bb.130:
	global_load_b32 v0, v[0:1], off offset:24
	s_waitcnt vmcnt(0)
	v_dual_mov_b32 v1, 0 :: v_dual_and_b32 v6, 0xffffff, v0
	s_waitcnt_vscnt null, 0x0
	global_store_b64 v[2:3], v[0:1], off
	v_readfirstlane_b32 m0, v6
	s_sendmsg sendmsg(MSG_INTERRUPT)
.LBB3_131:
	s_or_b32 exec_lo, exec_lo, s1
	s_branch .LBB3_135
	.p2align	6
.LBB3_132:                              ;   in Loop: Header=BB3_135 Depth=1
	s_or_b32 exec_lo, exec_lo, s1
	s_delay_alu instid0(VALU_DEP_1) | instskip(NEXT) | instid1(VALU_DEP_1)
	v_readfirstlane_b32 s1, v0
	s_cmp_eq_u32 s1, 0
	s_cbranch_scc1 .LBB3_134
; %bb.133:                              ;   in Loop: Header=BB3_135 Depth=1
	s_sleep 1
	s_cbranch_execnz .LBB3_135
	s_branch .LBB3_137
	.p2align	6
.LBB3_134:
	s_branch .LBB3_137
.LBB3_135:                              ; =>This Inner Loop Header: Depth=1
	v_mov_b32_e32 v0, 1
	s_and_saveexec_b32 s1, s0
	s_cbranch_execz .LBB3_132
; %bb.136:                              ;   in Loop: Header=BB3_135 Depth=1
	global_load_b32 v0, v[10:11], off offset:20 glc
	s_waitcnt vmcnt(0)
	buffer_gl1_inv
	buffer_gl0_inv
	v_and_b32_e32 v0, 1, v0
	s_branch .LBB3_132
.LBB3_137:
	global_load_b64 v[0:1], v[12:13], off
	s_and_saveexec_b32 s1, s0
	s_cbranch_execz .LBB3_141
; %bb.138:
	v_mov_b32_e32 v10, 0
	s_clause 0x2
	global_load_b64 v[2:3], v10, s[2:3] offset:40
	global_load_b64 v[11:12], v10, s[2:3] offset:24 glc
	global_load_b64 v[8:9], v10, s[2:3]
	s_waitcnt vmcnt(2)
	v_add_co_u32 v13, vcc_lo, v2, 1
	v_add_co_ci_u32_e32 v14, vcc_lo, 0, v3, vcc_lo
	s_delay_alu instid0(VALU_DEP_2) | instskip(NEXT) | instid1(VALU_DEP_2)
	v_add_co_u32 v6, vcc_lo, v13, s4
	v_add_co_ci_u32_e32 v7, vcc_lo, s5, v14, vcc_lo
	s_delay_alu instid0(VALU_DEP_1) | instskip(SKIP_1) | instid1(VALU_DEP_1)
	v_cmp_eq_u64_e32 vcc_lo, 0, v[6:7]
	v_dual_cndmask_b32 v7, v7, v14 :: v_dual_cndmask_b32 v6, v6, v13
	v_and_b32_e32 v3, v7, v3
	s_delay_alu instid0(VALU_DEP_2) | instskip(NEXT) | instid1(VALU_DEP_2)
	v_and_b32_e32 v2, v6, v2
	v_mul_lo_u32 v3, v3, 24
	s_delay_alu instid0(VALU_DEP_2) | instskip(SKIP_1) | instid1(VALU_DEP_2)
	v_mul_hi_u32 v13, v2, 24
	v_mul_lo_u32 v2, v2, 24
	v_add_nc_u32_e32 v3, v13, v3
	s_waitcnt vmcnt(0)
	s_delay_alu instid0(VALU_DEP_2) | instskip(SKIP_1) | instid1(VALU_DEP_3)
	v_add_co_u32 v2, vcc_lo, v8, v2
	v_mov_b32_e32 v8, v11
	v_add_co_ci_u32_e32 v3, vcc_lo, v9, v3, vcc_lo
	v_mov_b32_e32 v9, v12
	global_store_b64 v[2:3], v[11:12], off
	s_waitcnt_vscnt null, 0x0
	global_atomic_cmpswap_b64 v[8:9], v10, v[6:9], s[2:3] offset:24 glc
	s_waitcnt vmcnt(0)
	v_cmp_ne_u64_e32 vcc_lo, v[8:9], v[11:12]
	s_and_b32 exec_lo, exec_lo, vcc_lo
	s_cbranch_execz .LBB3_141
; %bb.139:
	s_mov_b32 s0, 0
.LBB3_140:                              ; =>This Inner Loop Header: Depth=1
	s_sleep 1
	global_store_b64 v[2:3], v[8:9], off
	s_waitcnt_vscnt null, 0x0
	global_atomic_cmpswap_b64 v[11:12], v10, v[6:9], s[2:3] offset:24 glc
	s_waitcnt vmcnt(0)
	v_cmp_eq_u64_e32 vcc_lo, v[11:12], v[8:9]
	v_dual_mov_b32 v8, v11 :: v_dual_mov_b32 v9, v12
	s_or_b32 s0, vcc_lo, s0
	s_delay_alu instid0(SALU_CYCLE_1)
	s_and_not1_b32 exec_lo, exec_lo, s0
	s_cbranch_execnz .LBB3_140
.LBB3_141:
	s_or_b32 exec_lo, exec_lo, s1
.LBB3_142:
	s_getpc_b64 s[4:5]
	s_add_u32 s4, s4, .str.3@rel32@lo+4
	s_addc_u32 s5, s5, .str.3@rel32@hi+12
	s_delay_alu instid0(SALU_CYCLE_1)
	s_cmp_lg_u64 s[4:5], 0
	s_cbranch_scc0 .LBB3_220
; %bb.143:
	s_getpc_b64 s[0:1]
	s_add_u32 s0, s0, .str.3@rel32@lo+80
	s_addc_u32 s1, s1, .str.3@rel32@hi+88
	s_waitcnt vmcnt(0)
	v_dual_mov_b32 v10, 0 :: v_dual_and_b32 v33, 2, v0
	v_dual_mov_b32 v7, v1 :: v_dual_and_b32 v6, -3, v0
	v_dual_mov_b32 v11, 2 :: v_dual_mov_b32 v12, 1
	s_sub_i32 s6, s0, s4
	s_delay_alu instid0(SALU_CYCLE_1)
	s_ashr_i32 s7, s6, 31
	s_branch .LBB3_145
.LBB3_144:                              ;   in Loop: Header=BB3_145 Depth=1
	s_or_b32 exec_lo, exec_lo, s1
	s_sub_u32 s6, s6, s10
	s_subb_u32 s7, s7, s11
	s_add_u32 s4, s4, s10
	s_addc_u32 s5, s5, s11
	s_cmp_lg_u64 s[6:7], 0
	s_cbranch_scc0 .LBB3_221
.LBB3_145:                              ; =>This Loop Header: Depth=1
                                        ;     Child Loop BB3_154 Depth 2
                                        ;     Child Loop BB3_150 Depth 2
	;; [unrolled: 1-line block ×11, first 2 shown]
	v_cmp_lt_u64_e64 s0, s[6:7], 56
	v_cmp_gt_u64_e64 s1, s[6:7], 7
                                        ; implicit-def: $vgpr15_vgpr16
                                        ; implicit-def: $sgpr16
	s_delay_alu instid0(VALU_DEP_2) | instskip(SKIP_2) | instid1(VALU_DEP_1)
	s_and_b32 s0, s0, exec_lo
	s_cselect_b32 s11, s7, 0
	s_cselect_b32 s10, s6, 56
	s_and_b32 vcc_lo, exec_lo, s1
	s_mov_b32 s0, -1
	s_cbranch_vccz .LBB3_152
; %bb.146:                              ;   in Loop: Header=BB3_145 Depth=1
	s_and_not1_b32 vcc_lo, exec_lo, s0
	s_mov_b64 s[0:1], s[4:5]
	s_cbranch_vccz .LBB3_156
.LBB3_147:                              ;   in Loop: Header=BB3_145 Depth=1
	s_cmp_gt_u32 s16, 7
	s_cbranch_scc1 .LBB3_157
.LBB3_148:                              ;   in Loop: Header=BB3_145 Depth=1
	v_mov_b32_e32 v17, 0
	v_mov_b32_e32 v18, 0
	s_cmp_eq_u32 s16, 0
	s_cbranch_scc1 .LBB3_151
; %bb.149:                              ;   in Loop: Header=BB3_145 Depth=1
	s_mov_b64 s[12:13], 0
	s_mov_b64 s[14:15], 0
.LBB3_150:                              ;   Parent Loop BB3_145 Depth=1
                                        ; =>  This Inner Loop Header: Depth=2
	s_delay_alu instid0(SALU_CYCLE_1)
	s_add_u32 s18, s0, s14
	s_addc_u32 s19, s1, s15
	s_add_u32 s14, s14, 1
	global_load_u8 v2, v10, s[18:19]
	s_addc_u32 s15, s15, 0
	s_waitcnt vmcnt(0)
	v_and_b32_e32 v9, 0xffff, v2
	s_delay_alu instid0(VALU_DEP_1) | instskip(SKIP_3) | instid1(VALU_DEP_1)
	v_lshlrev_b64 v[2:3], s12, v[9:10]
	s_add_u32 s12, s12, 8
	s_addc_u32 s13, s13, 0
	s_cmp_lg_u32 s16, s14
	v_or_b32_e32 v17, v2, v17
	s_delay_alu instid0(VALU_DEP_2)
	v_or_b32_e32 v18, v3, v18
	s_cbranch_scc1 .LBB3_150
.LBB3_151:                              ;   in Loop: Header=BB3_145 Depth=1
	s_mov_b32 s17, 0
	s_cbranch_execz .LBB3_158
	s_branch .LBB3_159
.LBB3_152:                              ;   in Loop: Header=BB3_145 Depth=1
	v_mov_b32_e32 v15, 0
	v_mov_b32_e32 v16, 0
	s_cmp_eq_u64 s[6:7], 0
	s_mov_b64 s[0:1], 0
	s_cbranch_scc1 .LBB3_155
; %bb.153:                              ;   in Loop: Header=BB3_145 Depth=1
	v_mov_b32_e32 v15, 0
	v_mov_b32_e32 v16, 0
	s_lshl_b64 s[12:13], s[10:11], 3
	s_mov_b64 s[14:15], s[4:5]
.LBB3_154:                              ;   Parent Loop BB3_145 Depth=1
                                        ; =>  This Inner Loop Header: Depth=2
	global_load_u8 v2, v10, s[14:15]
	s_waitcnt vmcnt(0)
	v_and_b32_e32 v9, 0xffff, v2
	s_delay_alu instid0(VALU_DEP_1)
	v_lshlrev_b64 v[2:3], s0, v[9:10]
	s_add_u32 s0, s0, 8
	s_addc_u32 s1, s1, 0
	s_add_u32 s14, s14, 1
	s_addc_u32 s15, s15, 0
	s_cmp_lg_u32 s12, s0
	v_or_b32_e32 v15, v2, v15
	v_or_b32_e32 v16, v3, v16
	s_cbranch_scc1 .LBB3_154
.LBB3_155:                              ;   in Loop: Header=BB3_145 Depth=1
	s_mov_b32 s16, 0
	s_mov_b64 s[0:1], s[4:5]
	s_cbranch_execnz .LBB3_147
.LBB3_156:                              ;   in Loop: Header=BB3_145 Depth=1
	global_load_b64 v[15:16], v10, s[4:5]
	s_add_i32 s16, s10, -8
	s_add_u32 s0, s4, 8
	s_addc_u32 s1, s5, 0
	s_cmp_gt_u32 s16, 7
	s_cbranch_scc0 .LBB3_148
.LBB3_157:                              ;   in Loop: Header=BB3_145 Depth=1
                                        ; implicit-def: $vgpr17_vgpr18
                                        ; implicit-def: $sgpr17
.LBB3_158:                              ;   in Loop: Header=BB3_145 Depth=1
	global_load_b64 v[17:18], v10, s[0:1]
	s_add_i32 s17, s16, -8
	s_add_u32 s0, s0, 8
	s_addc_u32 s1, s1, 0
.LBB3_159:                              ;   in Loop: Header=BB3_145 Depth=1
	s_cmp_gt_u32 s17, 7
	s_cbranch_scc1 .LBB3_164
; %bb.160:                              ;   in Loop: Header=BB3_145 Depth=1
	v_mov_b32_e32 v19, 0
	v_mov_b32_e32 v20, 0
	s_cmp_eq_u32 s17, 0
	s_cbranch_scc1 .LBB3_163
; %bb.161:                              ;   in Loop: Header=BB3_145 Depth=1
	s_mov_b64 s[12:13], 0
	s_mov_b64 s[14:15], 0
.LBB3_162:                              ;   Parent Loop BB3_145 Depth=1
                                        ; =>  This Inner Loop Header: Depth=2
	s_delay_alu instid0(SALU_CYCLE_1)
	s_add_u32 s18, s0, s14
	s_addc_u32 s19, s1, s15
	s_add_u32 s14, s14, 1
	global_load_u8 v2, v10, s[18:19]
	s_addc_u32 s15, s15, 0
	s_waitcnt vmcnt(0)
	v_and_b32_e32 v9, 0xffff, v2
	s_delay_alu instid0(VALU_DEP_1) | instskip(SKIP_3) | instid1(VALU_DEP_1)
	v_lshlrev_b64 v[2:3], s12, v[9:10]
	s_add_u32 s12, s12, 8
	s_addc_u32 s13, s13, 0
	s_cmp_lg_u32 s17, s14
	v_or_b32_e32 v19, v2, v19
	s_delay_alu instid0(VALU_DEP_2)
	v_or_b32_e32 v20, v3, v20
	s_cbranch_scc1 .LBB3_162
.LBB3_163:                              ;   in Loop: Header=BB3_145 Depth=1
	s_mov_b32 s16, 0
	s_cbranch_execz .LBB3_165
	s_branch .LBB3_166
.LBB3_164:                              ;   in Loop: Header=BB3_145 Depth=1
                                        ; implicit-def: $sgpr16
.LBB3_165:                              ;   in Loop: Header=BB3_145 Depth=1
	global_load_b64 v[19:20], v10, s[0:1]
	s_add_i32 s16, s17, -8
	s_add_u32 s0, s0, 8
	s_addc_u32 s1, s1, 0
.LBB3_166:                              ;   in Loop: Header=BB3_145 Depth=1
	s_cmp_gt_u32 s16, 7
	s_cbranch_scc1 .LBB3_171
; %bb.167:                              ;   in Loop: Header=BB3_145 Depth=1
	v_mov_b32_e32 v21, 0
	v_mov_b32_e32 v22, 0
	s_cmp_eq_u32 s16, 0
	s_cbranch_scc1 .LBB3_170
; %bb.168:                              ;   in Loop: Header=BB3_145 Depth=1
	s_mov_b64 s[12:13], 0
	s_mov_b64 s[14:15], 0
.LBB3_169:                              ;   Parent Loop BB3_145 Depth=1
                                        ; =>  This Inner Loop Header: Depth=2
	s_delay_alu instid0(SALU_CYCLE_1)
	s_add_u32 s18, s0, s14
	s_addc_u32 s19, s1, s15
	s_add_u32 s14, s14, 1
	global_load_u8 v2, v10, s[18:19]
	s_addc_u32 s15, s15, 0
	s_waitcnt vmcnt(0)
	v_and_b32_e32 v9, 0xffff, v2
	s_delay_alu instid0(VALU_DEP_1) | instskip(SKIP_3) | instid1(VALU_DEP_1)
	v_lshlrev_b64 v[2:3], s12, v[9:10]
	s_add_u32 s12, s12, 8
	s_addc_u32 s13, s13, 0
	s_cmp_lg_u32 s16, s14
	v_or_b32_e32 v21, v2, v21
	s_delay_alu instid0(VALU_DEP_2)
	v_or_b32_e32 v22, v3, v22
	s_cbranch_scc1 .LBB3_169
.LBB3_170:                              ;   in Loop: Header=BB3_145 Depth=1
	s_mov_b32 s17, 0
	s_cbranch_execz .LBB3_172
	s_branch .LBB3_173
.LBB3_171:                              ;   in Loop: Header=BB3_145 Depth=1
                                        ; implicit-def: $vgpr21_vgpr22
                                        ; implicit-def: $sgpr17
.LBB3_172:                              ;   in Loop: Header=BB3_145 Depth=1
	global_load_b64 v[21:22], v10, s[0:1]
	s_add_i32 s17, s16, -8
	s_add_u32 s0, s0, 8
	s_addc_u32 s1, s1, 0
.LBB3_173:                              ;   in Loop: Header=BB3_145 Depth=1
	s_cmp_gt_u32 s17, 7
	s_cbranch_scc1 .LBB3_178
; %bb.174:                              ;   in Loop: Header=BB3_145 Depth=1
	v_mov_b32_e32 v23, 0
	v_mov_b32_e32 v24, 0
	s_cmp_eq_u32 s17, 0
	s_cbranch_scc1 .LBB3_177
; %bb.175:                              ;   in Loop: Header=BB3_145 Depth=1
	s_mov_b64 s[12:13], 0
	s_mov_b64 s[14:15], 0
.LBB3_176:                              ;   Parent Loop BB3_145 Depth=1
                                        ; =>  This Inner Loop Header: Depth=2
	s_delay_alu instid0(SALU_CYCLE_1)
	s_add_u32 s18, s0, s14
	s_addc_u32 s19, s1, s15
	s_add_u32 s14, s14, 1
	global_load_u8 v2, v10, s[18:19]
	s_addc_u32 s15, s15, 0
	s_waitcnt vmcnt(0)
	v_and_b32_e32 v9, 0xffff, v2
	s_delay_alu instid0(VALU_DEP_1) | instskip(SKIP_3) | instid1(VALU_DEP_1)
	v_lshlrev_b64 v[2:3], s12, v[9:10]
	s_add_u32 s12, s12, 8
	s_addc_u32 s13, s13, 0
	s_cmp_lg_u32 s17, s14
	v_or_b32_e32 v23, v2, v23
	s_delay_alu instid0(VALU_DEP_2)
	v_or_b32_e32 v24, v3, v24
	s_cbranch_scc1 .LBB3_176
.LBB3_177:                              ;   in Loop: Header=BB3_145 Depth=1
	s_mov_b32 s16, 0
	s_cbranch_execz .LBB3_179
	s_branch .LBB3_180
.LBB3_178:                              ;   in Loop: Header=BB3_145 Depth=1
                                        ; implicit-def: $sgpr16
.LBB3_179:                              ;   in Loop: Header=BB3_145 Depth=1
	global_load_b64 v[23:24], v10, s[0:1]
	s_add_i32 s16, s17, -8
	s_add_u32 s0, s0, 8
	s_addc_u32 s1, s1, 0
.LBB3_180:                              ;   in Loop: Header=BB3_145 Depth=1
	s_cmp_gt_u32 s16, 7
	s_cbranch_scc1 .LBB3_185
; %bb.181:                              ;   in Loop: Header=BB3_145 Depth=1
	v_mov_b32_e32 v25, 0
	v_mov_b32_e32 v26, 0
	s_cmp_eq_u32 s16, 0
	s_cbranch_scc1 .LBB3_184
; %bb.182:                              ;   in Loop: Header=BB3_145 Depth=1
	s_mov_b64 s[12:13], 0
	s_mov_b64 s[14:15], 0
.LBB3_183:                              ;   Parent Loop BB3_145 Depth=1
                                        ; =>  This Inner Loop Header: Depth=2
	s_delay_alu instid0(SALU_CYCLE_1)
	s_add_u32 s18, s0, s14
	s_addc_u32 s19, s1, s15
	s_add_u32 s14, s14, 1
	global_load_u8 v2, v10, s[18:19]
	s_addc_u32 s15, s15, 0
	s_waitcnt vmcnt(0)
	v_and_b32_e32 v9, 0xffff, v2
	s_delay_alu instid0(VALU_DEP_1) | instskip(SKIP_3) | instid1(VALU_DEP_1)
	v_lshlrev_b64 v[2:3], s12, v[9:10]
	s_add_u32 s12, s12, 8
	s_addc_u32 s13, s13, 0
	s_cmp_lg_u32 s16, s14
	v_or_b32_e32 v25, v2, v25
	s_delay_alu instid0(VALU_DEP_2)
	v_or_b32_e32 v26, v3, v26
	s_cbranch_scc1 .LBB3_183
.LBB3_184:                              ;   in Loop: Header=BB3_145 Depth=1
	s_mov_b32 s17, 0
	s_cbranch_execz .LBB3_186
	s_branch .LBB3_187
.LBB3_185:                              ;   in Loop: Header=BB3_145 Depth=1
                                        ; implicit-def: $vgpr25_vgpr26
                                        ; implicit-def: $sgpr17
.LBB3_186:                              ;   in Loop: Header=BB3_145 Depth=1
	global_load_b64 v[25:26], v10, s[0:1]
	s_add_i32 s17, s16, -8
	s_add_u32 s0, s0, 8
	s_addc_u32 s1, s1, 0
.LBB3_187:                              ;   in Loop: Header=BB3_145 Depth=1
	s_cmp_gt_u32 s17, 7
	s_cbranch_scc1 .LBB3_192
; %bb.188:                              ;   in Loop: Header=BB3_145 Depth=1
	v_mov_b32_e32 v27, 0
	v_mov_b32_e32 v28, 0
	s_cmp_eq_u32 s17, 0
	s_cbranch_scc1 .LBB3_191
; %bb.189:                              ;   in Loop: Header=BB3_145 Depth=1
	s_mov_b64 s[12:13], 0
	s_mov_b64 s[14:15], s[0:1]
.LBB3_190:                              ;   Parent Loop BB3_145 Depth=1
                                        ; =>  This Inner Loop Header: Depth=2
	global_load_u8 v2, v10, s[14:15]
	s_add_i32 s17, s17, -1
	s_waitcnt vmcnt(0)
	v_and_b32_e32 v9, 0xffff, v2
	s_delay_alu instid0(VALU_DEP_1)
	v_lshlrev_b64 v[2:3], s12, v[9:10]
	s_add_u32 s12, s12, 8
	s_addc_u32 s13, s13, 0
	s_add_u32 s14, s14, 1
	s_addc_u32 s15, s15, 0
	s_cmp_lg_u32 s17, 0
	v_or_b32_e32 v27, v2, v27
	v_or_b32_e32 v28, v3, v28
	s_cbranch_scc1 .LBB3_190
.LBB3_191:                              ;   in Loop: Header=BB3_145 Depth=1
	s_cbranch_execz .LBB3_193
	s_branch .LBB3_194
.LBB3_192:                              ;   in Loop: Header=BB3_145 Depth=1
.LBB3_193:                              ;   in Loop: Header=BB3_145 Depth=1
	global_load_b64 v[27:28], v10, s[0:1]
.LBB3_194:                              ;   in Loop: Header=BB3_145 Depth=1
	v_readfirstlane_b32 s0, v35
	v_mov_b32_e32 v2, 0
	v_mov_b32_e32 v3, 0
	s_delay_alu instid0(VALU_DEP_3) | instskip(NEXT) | instid1(VALU_DEP_1)
	v_cmp_eq_u32_e64 s0, s0, v35
	s_and_saveexec_b32 s1, s0
	s_cbranch_execz .LBB3_200
; %bb.195:                              ;   in Loop: Header=BB3_145 Depth=1
	global_load_b64 v[31:32], v10, s[2:3] offset:24 glc
	s_waitcnt vmcnt(0)
	buffer_gl1_inv
	buffer_gl0_inv
	s_clause 0x1
	global_load_b64 v[2:3], v10, s[2:3] offset:40
	global_load_b64 v[8:9], v10, s[2:3]
	s_mov_b32 s12, exec_lo
	s_waitcnt vmcnt(1)
	v_and_b32_e32 v3, v3, v32
	v_and_b32_e32 v2, v2, v31
	s_delay_alu instid0(VALU_DEP_2) | instskip(NEXT) | instid1(VALU_DEP_2)
	v_mul_lo_u32 v3, v3, 24
	v_mul_hi_u32 v13, v2, 24
	v_mul_lo_u32 v2, v2, 24
	s_delay_alu instid0(VALU_DEP_2) | instskip(SKIP_1) | instid1(VALU_DEP_2)
	v_add_nc_u32_e32 v3, v13, v3
	s_waitcnt vmcnt(0)
	v_add_co_u32 v2, vcc_lo, v8, v2
	s_delay_alu instid0(VALU_DEP_2)
	v_add_co_ci_u32_e32 v3, vcc_lo, v9, v3, vcc_lo
	global_load_b64 v[29:30], v[2:3], off glc
	s_waitcnt vmcnt(0)
	global_atomic_cmpswap_b64 v[2:3], v10, v[29:32], s[2:3] offset:24 glc
	s_waitcnt vmcnt(0)
	buffer_gl1_inv
	buffer_gl0_inv
	v_cmpx_ne_u64_e64 v[2:3], v[31:32]
	s_cbranch_execz .LBB3_199
; %bb.196:                              ;   in Loop: Header=BB3_145 Depth=1
	s_mov_b32 s13, 0
	.p2align	6
.LBB3_197:                              ;   Parent Loop BB3_145 Depth=1
                                        ; =>  This Inner Loop Header: Depth=2
	s_sleep 1
	s_clause 0x1
	global_load_b64 v[8:9], v10, s[2:3] offset:40
	global_load_b64 v[13:14], v10, s[2:3]
	v_dual_mov_b32 v32, v3 :: v_dual_mov_b32 v31, v2
	s_waitcnt vmcnt(1)
	s_delay_alu instid0(VALU_DEP_1) | instskip(SKIP_1) | instid1(VALU_DEP_1)
	v_and_b32_e32 v8, v8, v31
	s_waitcnt vmcnt(0)
	v_mad_u64_u32 v[2:3], null, v8, 24, v[13:14]
	v_and_b32_e32 v13, v9, v32
	s_delay_alu instid0(VALU_DEP_1) | instskip(NEXT) | instid1(VALU_DEP_1)
	v_mad_u64_u32 v[8:9], null, v13, 24, v[3:4]
	v_mov_b32_e32 v3, v8
	global_load_b64 v[29:30], v[2:3], off glc
	s_waitcnt vmcnt(0)
	global_atomic_cmpswap_b64 v[2:3], v10, v[29:32], s[2:3] offset:24 glc
	s_waitcnt vmcnt(0)
	buffer_gl1_inv
	buffer_gl0_inv
	v_cmp_eq_u64_e32 vcc_lo, v[2:3], v[31:32]
	s_or_b32 s13, vcc_lo, s13
	s_delay_alu instid0(SALU_CYCLE_1)
	s_and_not1_b32 exec_lo, exec_lo, s13
	s_cbranch_execnz .LBB3_197
; %bb.198:                              ;   in Loop: Header=BB3_145 Depth=1
	s_or_b32 exec_lo, exec_lo, s13
.LBB3_199:                              ;   in Loop: Header=BB3_145 Depth=1
	s_delay_alu instid0(SALU_CYCLE_1)
	s_or_b32 exec_lo, exec_lo, s12
.LBB3_200:                              ;   in Loop: Header=BB3_145 Depth=1
	s_delay_alu instid0(SALU_CYCLE_1)
	s_or_b32 exec_lo, exec_lo, s1
	s_clause 0x1
	global_load_b64 v[8:9], v10, s[2:3] offset:40
	global_load_b128 v[29:32], v10, s[2:3]
	v_readfirstlane_b32 s12, v2
	v_readfirstlane_b32 s13, v3
	s_mov_b32 s1, exec_lo
	s_waitcnt vmcnt(1)
	v_readfirstlane_b32 s14, v8
	v_readfirstlane_b32 s15, v9
	s_delay_alu instid0(VALU_DEP_1) | instskip(NEXT) | instid1(SALU_CYCLE_1)
	s_and_b64 s[14:15], s[12:13], s[14:15]
	s_mul_i32 s16, s15, 24
	s_mul_hi_u32 s17, s14, 24
	s_mul_i32 s18, s14, 24
	s_add_i32 s17, s17, s16
	s_waitcnt vmcnt(0)
	v_add_co_u32 v2, vcc_lo, v29, s18
	v_add_co_ci_u32_e32 v3, vcc_lo, s17, v30, vcc_lo
	s_and_saveexec_b32 s16, s0
	s_cbranch_execz .LBB3_202
; %bb.201:                              ;   in Loop: Header=BB3_145 Depth=1
	v_mov_b32_e32 v9, s1
	global_store_b128 v[2:3], v[9:12], off offset:8
.LBB3_202:                              ;   in Loop: Header=BB3_145 Depth=1
	s_or_b32 exec_lo, exec_lo, s16
	s_lshl_b64 s[14:15], s[14:15], 12
	v_cmp_gt_u64_e64 vcc_lo, s[6:7], 56
	v_or_b32_e32 v9, v6, v33
	v_add_co_u32 v31, s1, v31, s14
	s_delay_alu instid0(VALU_DEP_1)
	v_add_co_ci_u32_e64 v32, s1, s15, v32, s1
	s_lshl_b32 s1, s10, 2
	v_or_b32_e32 v8, 0, v7
	v_cndmask_b32_e32 v6, v9, v6, vcc_lo
	s_add_i32 s1, s1, 28
	v_readfirstlane_b32 s14, v31
	s_and_b32 s1, s1, 0x1e0
	v_cndmask_b32_e32 v14, v8, v7, vcc_lo
	v_readfirstlane_b32 s15, v32
	v_and_or_b32 v13, 0xffffff1f, v6, s1
	s_clause 0x3
	global_store_b128 v34, v[13:16], s[14:15]
	global_store_b128 v34, v[17:20], s[14:15] offset:16
	global_store_b128 v34, v[21:24], s[14:15] offset:32
	;; [unrolled: 1-line block ×3, first 2 shown]
	s_and_saveexec_b32 s1, s0
	s_cbranch_execz .LBB3_210
; %bb.203:                              ;   in Loop: Header=BB3_145 Depth=1
	s_clause 0x1
	global_load_b64 v[17:18], v10, s[2:3] offset:32 glc
	global_load_b64 v[6:7], v10, s[2:3] offset:40
	v_dual_mov_b32 v15, s12 :: v_dual_mov_b32 v16, s13
	s_waitcnt vmcnt(0)
	v_readfirstlane_b32 s14, v6
	v_readfirstlane_b32 s15, v7
	s_delay_alu instid0(VALU_DEP_1) | instskip(NEXT) | instid1(SALU_CYCLE_1)
	s_and_b64 s[14:15], s[14:15], s[12:13]
	s_mul_i32 s15, s15, 24
	s_mul_hi_u32 s16, s14, 24
	s_mul_i32 s14, s14, 24
	s_add_i32 s16, s16, s15
	v_add_co_u32 v13, vcc_lo, v29, s14
	v_add_co_ci_u32_e32 v14, vcc_lo, s16, v30, vcc_lo
	s_mov_b32 s14, exec_lo
	global_store_b64 v[13:14], v[17:18], off
	s_waitcnt_vscnt null, 0x0
	global_atomic_cmpswap_b64 v[8:9], v10, v[15:18], s[2:3] offset:32 glc
	s_waitcnt vmcnt(0)
	v_cmpx_ne_u64_e64 v[8:9], v[17:18]
	s_cbranch_execz .LBB3_206
; %bb.204:                              ;   in Loop: Header=BB3_145 Depth=1
	s_mov_b32 s15, 0
.LBB3_205:                              ;   Parent Loop BB3_145 Depth=1
                                        ; =>  This Inner Loop Header: Depth=2
	v_dual_mov_b32 v6, s12 :: v_dual_mov_b32 v7, s13
	s_sleep 1
	global_store_b64 v[13:14], v[8:9], off
	s_waitcnt_vscnt null, 0x0
	global_atomic_cmpswap_b64 v[6:7], v10, v[6:9], s[2:3] offset:32 glc
	s_waitcnt vmcnt(0)
	v_cmp_eq_u64_e32 vcc_lo, v[6:7], v[8:9]
	v_dual_mov_b32 v9, v7 :: v_dual_mov_b32 v8, v6
	s_or_b32 s15, vcc_lo, s15
	s_delay_alu instid0(SALU_CYCLE_1)
	s_and_not1_b32 exec_lo, exec_lo, s15
	s_cbranch_execnz .LBB3_205
.LBB3_206:                              ;   in Loop: Header=BB3_145 Depth=1
	s_or_b32 exec_lo, exec_lo, s14
	global_load_b64 v[6:7], v10, s[2:3] offset:16
	s_mov_b32 s15, exec_lo
	s_mov_b32 s14, exec_lo
	v_mbcnt_lo_u32_b32 v8, s15, 0
	s_delay_alu instid0(VALU_DEP_1)
	v_cmpx_eq_u32_e32 0, v8
	s_cbranch_execz .LBB3_208
; %bb.207:                              ;   in Loop: Header=BB3_145 Depth=1
	s_bcnt1_i32_b32 s15, s15
	s_delay_alu instid0(SALU_CYCLE_1)
	v_mov_b32_e32 v9, s15
	s_waitcnt vmcnt(0)
	global_atomic_add_u64 v[6:7], v[9:10], off offset:8
.LBB3_208:                              ;   in Loop: Header=BB3_145 Depth=1
	s_or_b32 exec_lo, exec_lo, s14
	s_waitcnt vmcnt(0)
	global_load_b64 v[13:14], v[6:7], off offset:16
	s_waitcnt vmcnt(0)
	v_cmp_eq_u64_e32 vcc_lo, 0, v[13:14]
	s_cbranch_vccnz .LBB3_210
; %bb.209:                              ;   in Loop: Header=BB3_145 Depth=1
	global_load_b32 v9, v[6:7], off offset:24
	s_waitcnt vmcnt(0)
	v_and_b32_e32 v6, 0xffffff, v9
	s_waitcnt_vscnt null, 0x0
	global_store_b64 v[13:14], v[9:10], off
	v_readfirstlane_b32 m0, v6
	s_sendmsg sendmsg(MSG_INTERRUPT)
.LBB3_210:                              ;   in Loop: Header=BB3_145 Depth=1
	s_or_b32 exec_lo, exec_lo, s1
	v_add_co_u32 v6, vcc_lo, v31, v34
	v_add_co_ci_u32_e32 v7, vcc_lo, 0, v32, vcc_lo
	s_branch .LBB3_214
	.p2align	6
.LBB3_211:                              ;   in Loop: Header=BB3_214 Depth=2
	s_or_b32 exec_lo, exec_lo, s1
	s_delay_alu instid0(VALU_DEP_1) | instskip(NEXT) | instid1(VALU_DEP_1)
	v_readfirstlane_b32 s1, v8
	s_cmp_eq_u32 s1, 0
	s_cbranch_scc1 .LBB3_213
; %bb.212:                              ;   in Loop: Header=BB3_214 Depth=2
	s_sleep 1
	s_cbranch_execnz .LBB3_214
	s_branch .LBB3_216
	.p2align	6
.LBB3_213:                              ;   in Loop: Header=BB3_145 Depth=1
	s_branch .LBB3_216
.LBB3_214:                              ;   Parent Loop BB3_145 Depth=1
                                        ; =>  This Inner Loop Header: Depth=2
	v_mov_b32_e32 v8, 1
	s_and_saveexec_b32 s1, s0
	s_cbranch_execz .LBB3_211
; %bb.215:                              ;   in Loop: Header=BB3_214 Depth=2
	global_load_b32 v8, v[2:3], off offset:20 glc
	s_waitcnt vmcnt(0)
	buffer_gl1_inv
	buffer_gl0_inv
	v_and_b32_e32 v8, 1, v8
	s_branch .LBB3_211
.LBB3_216:                              ;   in Loop: Header=BB3_145 Depth=1
	global_load_b128 v[6:9], v[6:7], off
	s_and_saveexec_b32 s1, s0
	s_cbranch_execz .LBB3_144
; %bb.217:                              ;   in Loop: Header=BB3_145 Depth=1
	s_clause 0x2
	global_load_b64 v[2:3], v10, s[2:3] offset:40
	global_load_b64 v[8:9], v10, s[2:3] offset:24 glc
	global_load_b64 v[15:16], v10, s[2:3]
	s_waitcnt vmcnt(2)
	v_add_co_u32 v17, vcc_lo, v2, 1
	v_add_co_ci_u32_e32 v18, vcc_lo, 0, v3, vcc_lo
	s_delay_alu instid0(VALU_DEP_2) | instskip(NEXT) | instid1(VALU_DEP_2)
	v_add_co_u32 v13, vcc_lo, v17, s12
	v_add_co_ci_u32_e32 v14, vcc_lo, s13, v18, vcc_lo
	s_delay_alu instid0(VALU_DEP_1) | instskip(SKIP_1) | instid1(VALU_DEP_1)
	v_cmp_eq_u64_e32 vcc_lo, 0, v[13:14]
	v_dual_cndmask_b32 v14, v14, v18 :: v_dual_cndmask_b32 v13, v13, v17
	v_and_b32_e32 v3, v14, v3
	s_delay_alu instid0(VALU_DEP_2) | instskip(NEXT) | instid1(VALU_DEP_2)
	v_and_b32_e32 v2, v13, v2
	v_mul_lo_u32 v3, v3, 24
	s_delay_alu instid0(VALU_DEP_2) | instskip(SKIP_1) | instid1(VALU_DEP_2)
	v_mul_hi_u32 v17, v2, 24
	v_mul_lo_u32 v2, v2, 24
	v_add_nc_u32_e32 v3, v17, v3
	s_waitcnt vmcnt(0)
	s_delay_alu instid0(VALU_DEP_2) | instskip(SKIP_1) | instid1(VALU_DEP_3)
	v_add_co_u32 v2, vcc_lo, v15, v2
	v_mov_b32_e32 v15, v8
	v_add_co_ci_u32_e32 v3, vcc_lo, v16, v3, vcc_lo
	v_mov_b32_e32 v16, v9
	global_store_b64 v[2:3], v[8:9], off
	s_waitcnt_vscnt null, 0x0
	global_atomic_cmpswap_b64 v[15:16], v10, v[13:16], s[2:3] offset:24 glc
	s_waitcnt vmcnt(0)
	v_cmp_ne_u64_e32 vcc_lo, v[15:16], v[8:9]
	s_and_b32 exec_lo, exec_lo, vcc_lo
	s_cbranch_execz .LBB3_144
; %bb.218:                              ;   in Loop: Header=BB3_145 Depth=1
	s_mov_b32 s0, 0
.LBB3_219:                              ;   Parent Loop BB3_145 Depth=1
                                        ; =>  This Inner Loop Header: Depth=2
	s_sleep 1
	global_store_b64 v[2:3], v[15:16], off
	s_waitcnt_vscnt null, 0x0
	global_atomic_cmpswap_b64 v[8:9], v10, v[13:16], s[2:3] offset:24 glc
	s_waitcnt vmcnt(0)
	v_cmp_eq_u64_e32 vcc_lo, v[8:9], v[15:16]
	v_dual_mov_b32 v16, v9 :: v_dual_mov_b32 v15, v8
	s_or_b32 s0, vcc_lo, s0
	s_delay_alu instid0(SALU_CYCLE_1)
	s_and_not1_b32 exec_lo, exec_lo, s0
	s_cbranch_execnz .LBB3_219
	s_branch .LBB3_144
.LBB3_220:
                                        ; implicit-def: $vgpr6_vgpr7
	s_cbranch_execnz .LBB3_222
	s_branch .LBB3_249
.LBB3_221:
	s_branch .LBB3_249
.LBB3_222:
	v_readfirstlane_b32 s0, v35
	v_mov_b32_e32 v10, 0
	v_mov_b32_e32 v11, 0
	s_delay_alu instid0(VALU_DEP_3) | instskip(NEXT) | instid1(VALU_DEP_1)
	v_cmp_eq_u32_e64 s0, s0, v35
	s_and_saveexec_b32 s1, s0
	s_cbranch_execz .LBB3_228
; %bb.223:
	s_waitcnt vmcnt(0)
	v_mov_b32_e32 v2, 0
	s_mov_b32 s4, exec_lo
	global_load_b64 v[8:9], v2, s[2:3] offset:24 glc
	s_waitcnt vmcnt(0)
	buffer_gl1_inv
	buffer_gl0_inv
	s_clause 0x1
	global_load_b64 v[6:7], v2, s[2:3] offset:40
	global_load_b64 v[10:11], v2, s[2:3]
	s_waitcnt vmcnt(1)
	v_and_b32_e32 v3, v7, v9
	v_and_b32_e32 v6, v6, v8
	s_delay_alu instid0(VALU_DEP_2) | instskip(NEXT) | instid1(VALU_DEP_2)
	v_mul_lo_u32 v3, v3, 24
	v_mul_hi_u32 v7, v6, 24
	v_mul_lo_u32 v6, v6, 24
	s_delay_alu instid0(VALU_DEP_2) | instskip(SKIP_1) | instid1(VALU_DEP_2)
	v_add_nc_u32_e32 v3, v7, v3
	s_waitcnt vmcnt(0)
	v_add_co_u32 v6, vcc_lo, v10, v6
	s_delay_alu instid0(VALU_DEP_2)
	v_add_co_ci_u32_e32 v7, vcc_lo, v11, v3, vcc_lo
	global_load_b64 v[6:7], v[6:7], off glc
	s_waitcnt vmcnt(0)
	global_atomic_cmpswap_b64 v[10:11], v2, v[6:9], s[2:3] offset:24 glc
	s_waitcnt vmcnt(0)
	buffer_gl1_inv
	buffer_gl0_inv
	v_cmpx_ne_u64_e64 v[10:11], v[8:9]
	s_cbranch_execz .LBB3_227
; %bb.224:
	s_mov_b32 s5, 0
	.p2align	6
.LBB3_225:                              ; =>This Inner Loop Header: Depth=1
	s_sleep 1
	s_clause 0x1
	global_load_b64 v[6:7], v2, s[2:3] offset:40
	global_load_b64 v[12:13], v2, s[2:3]
	v_dual_mov_b32 v8, v10 :: v_dual_mov_b32 v9, v11
	s_waitcnt vmcnt(1)
	s_delay_alu instid0(VALU_DEP_1) | instskip(SKIP_1) | instid1(VALU_DEP_1)
	v_and_b32_e32 v3, v6, v8
	s_waitcnt vmcnt(0)
	v_mad_u64_u32 v[10:11], null, v3, 24, v[12:13]
	v_and_b32_e32 v12, v7, v9
	s_delay_alu instid0(VALU_DEP_2) | instskip(NEXT) | instid1(VALU_DEP_1)
	v_mov_b32_e32 v3, v11
	v_mad_u64_u32 v[6:7], null, v12, 24, v[3:4]
	s_delay_alu instid0(VALU_DEP_1)
	v_mov_b32_e32 v11, v6
	global_load_b64 v[6:7], v[10:11], off glc
	s_waitcnt vmcnt(0)
	global_atomic_cmpswap_b64 v[10:11], v2, v[6:9], s[2:3] offset:24 glc
	s_waitcnt vmcnt(0)
	buffer_gl1_inv
	buffer_gl0_inv
	v_cmp_eq_u64_e32 vcc_lo, v[10:11], v[8:9]
	s_or_b32 s5, vcc_lo, s5
	s_delay_alu instid0(SALU_CYCLE_1)
	s_and_not1_b32 exec_lo, exec_lo, s5
	s_cbranch_execnz .LBB3_225
; %bb.226:
	s_or_b32 exec_lo, exec_lo, s5
.LBB3_227:
	s_delay_alu instid0(SALU_CYCLE_1)
	s_or_b32 exec_lo, exec_lo, s4
.LBB3_228:
	s_delay_alu instid0(SALU_CYCLE_1)
	s_or_b32 exec_lo, exec_lo, s1
	s_waitcnt vmcnt(0)
	v_mov_b32_e32 v2, 0
	v_readfirstlane_b32 s4, v10
	v_readfirstlane_b32 s5, v11
	s_mov_b32 s1, exec_lo
	s_clause 0x1
	global_load_b64 v[12:13], v2, s[2:3] offset:40
	global_load_b128 v[6:9], v2, s[2:3]
	s_waitcnt vmcnt(1)
	v_readfirstlane_b32 s6, v12
	v_readfirstlane_b32 s7, v13
	s_delay_alu instid0(VALU_DEP_1) | instskip(NEXT) | instid1(SALU_CYCLE_1)
	s_and_b64 s[6:7], s[4:5], s[6:7]
	s_mul_i32 s10, s7, 24
	s_mul_hi_u32 s11, s6, 24
	s_mul_i32 s12, s6, 24
	s_add_i32 s11, s11, s10
	s_waitcnt vmcnt(0)
	v_add_co_u32 v10, vcc_lo, v6, s12
	v_add_co_ci_u32_e32 v11, vcc_lo, s11, v7, vcc_lo
	s_and_saveexec_b32 s10, s0
	s_cbranch_execz .LBB3_230
; %bb.229:
	v_dual_mov_b32 v12, s1 :: v_dual_mov_b32 v13, v2
	v_dual_mov_b32 v14, 2 :: v_dual_mov_b32 v15, 1
	global_store_b128 v[10:11], v[12:15], off offset:8
.LBB3_230:
	s_or_b32 exec_lo, exec_lo, s10
	s_lshl_b64 s[6:7], s[6:7], 12
	s_mov_b32 s12, 0
	v_add_co_u32 v8, vcc_lo, v8, s6
	v_add_co_ci_u32_e32 v9, vcc_lo, s7, v9, vcc_lo
	s_mov_b32 s13, s12
	s_delay_alu instid0(VALU_DEP_2)
	v_readfirstlane_b32 s6, v8
	v_add_co_u32 v8, vcc_lo, v8, v34
	s_mov_b32 s14, s12
	s_mov_b32 s15, s12
	v_and_or_b32 v0, 0xffffff1f, v0, 32
	v_dual_mov_b32 v3, v2 :: v_dual_mov_b32 v12, s12
	v_readfirstlane_b32 s7, v9
	v_add_co_ci_u32_e32 v9, vcc_lo, 0, v9, vcc_lo
	v_dual_mov_b32 v13, s13 :: v_dual_mov_b32 v14, s14
	v_mov_b32_e32 v15, s15
	s_clause 0x3
	global_store_b128 v34, v[0:3], s[6:7]
	global_store_b128 v34, v[12:15], s[6:7] offset:16
	global_store_b128 v34, v[12:15], s[6:7] offset:32
	;; [unrolled: 1-line block ×3, first 2 shown]
	s_and_saveexec_b32 s1, s0
	s_cbranch_execz .LBB3_238
; %bb.231:
	v_dual_mov_b32 v12, 0 :: v_dual_mov_b32 v13, s4
	v_mov_b32_e32 v14, s5
	s_clause 0x1
	global_load_b64 v[15:16], v12, s[2:3] offset:32 glc
	global_load_b64 v[0:1], v12, s[2:3] offset:40
	s_waitcnt vmcnt(0)
	v_readfirstlane_b32 s6, v0
	v_readfirstlane_b32 s7, v1
	s_delay_alu instid0(VALU_DEP_1) | instskip(NEXT) | instid1(SALU_CYCLE_1)
	s_and_b64 s[6:7], s[6:7], s[4:5]
	s_mul_i32 s7, s7, 24
	s_mul_hi_u32 s10, s6, 24
	s_mul_i32 s6, s6, 24
	s_add_i32 s10, s10, s7
	v_add_co_u32 v6, vcc_lo, v6, s6
	v_add_co_ci_u32_e32 v7, vcc_lo, s10, v7, vcc_lo
	s_mov_b32 s6, exec_lo
	global_store_b64 v[6:7], v[15:16], off
	s_waitcnt_vscnt null, 0x0
	global_atomic_cmpswap_b64 v[2:3], v12, v[13:16], s[2:3] offset:32 glc
	s_waitcnt vmcnt(0)
	v_cmpx_ne_u64_e64 v[2:3], v[15:16]
	s_cbranch_execz .LBB3_234
; %bb.232:
	s_mov_b32 s7, 0
.LBB3_233:                              ; =>This Inner Loop Header: Depth=1
	v_dual_mov_b32 v0, s4 :: v_dual_mov_b32 v1, s5
	s_sleep 1
	global_store_b64 v[6:7], v[2:3], off
	s_waitcnt_vscnt null, 0x0
	global_atomic_cmpswap_b64 v[0:1], v12, v[0:3], s[2:3] offset:32 glc
	s_waitcnt vmcnt(0)
	v_cmp_eq_u64_e32 vcc_lo, v[0:1], v[2:3]
	v_dual_mov_b32 v3, v1 :: v_dual_mov_b32 v2, v0
	s_or_b32 s7, vcc_lo, s7
	s_delay_alu instid0(SALU_CYCLE_1)
	s_and_not1_b32 exec_lo, exec_lo, s7
	s_cbranch_execnz .LBB3_233
.LBB3_234:
	s_or_b32 exec_lo, exec_lo, s6
	v_mov_b32_e32 v3, 0
	s_mov_b32 s7, exec_lo
	s_mov_b32 s6, exec_lo
	v_mbcnt_lo_u32_b32 v2, s7, 0
	global_load_b64 v[0:1], v3, s[2:3] offset:16
	v_cmpx_eq_u32_e32 0, v2
	s_cbranch_execz .LBB3_236
; %bb.235:
	s_bcnt1_i32_b32 s7, s7
	s_delay_alu instid0(SALU_CYCLE_1)
	v_mov_b32_e32 v2, s7
	s_waitcnt vmcnt(0)
	global_atomic_add_u64 v[0:1], v[2:3], off offset:8
.LBB3_236:
	s_or_b32 exec_lo, exec_lo, s6
	s_waitcnt vmcnt(0)
	global_load_b64 v[2:3], v[0:1], off offset:16
	s_waitcnt vmcnt(0)
	v_cmp_eq_u64_e32 vcc_lo, 0, v[2:3]
	s_cbranch_vccnz .LBB3_238
; %bb.237:
	global_load_b32 v0, v[0:1], off offset:24
	s_waitcnt vmcnt(0)
	v_dual_mov_b32 v1, 0 :: v_dual_and_b32 v6, 0xffffff, v0
	s_waitcnt_vscnt null, 0x0
	global_store_b64 v[2:3], v[0:1], off
	v_readfirstlane_b32 m0, v6
	s_sendmsg sendmsg(MSG_INTERRUPT)
.LBB3_238:
	s_or_b32 exec_lo, exec_lo, s1
	s_branch .LBB3_242
	.p2align	6
.LBB3_239:                              ;   in Loop: Header=BB3_242 Depth=1
	s_or_b32 exec_lo, exec_lo, s1
	s_delay_alu instid0(VALU_DEP_1) | instskip(NEXT) | instid1(VALU_DEP_1)
	v_readfirstlane_b32 s1, v0
	s_cmp_eq_u32 s1, 0
	s_cbranch_scc1 .LBB3_241
; %bb.240:                              ;   in Loop: Header=BB3_242 Depth=1
	s_sleep 1
	s_cbranch_execnz .LBB3_242
	s_branch .LBB3_244
	.p2align	6
.LBB3_241:
	s_branch .LBB3_244
.LBB3_242:                              ; =>This Inner Loop Header: Depth=1
	v_mov_b32_e32 v0, 1
	s_and_saveexec_b32 s1, s0
	s_cbranch_execz .LBB3_239
; %bb.243:                              ;   in Loop: Header=BB3_242 Depth=1
	global_load_b32 v0, v[10:11], off offset:20 glc
	s_waitcnt vmcnt(0)
	buffer_gl1_inv
	buffer_gl0_inv
	v_and_b32_e32 v0, 1, v0
	s_branch .LBB3_239
.LBB3_244:
	global_load_b64 v[6:7], v[8:9], off
	s_and_saveexec_b32 s1, s0
	s_cbranch_execz .LBB3_248
; %bb.245:
	v_mov_b32_e32 v10, 0
	s_clause 0x2
	global_load_b64 v[2:3], v10, s[2:3] offset:40
	global_load_b64 v[11:12], v10, s[2:3] offset:24 glc
	global_load_b64 v[8:9], v10, s[2:3]
	s_waitcnt vmcnt(2)
	v_add_co_u32 v13, vcc_lo, v2, 1
	v_add_co_ci_u32_e32 v14, vcc_lo, 0, v3, vcc_lo
	s_delay_alu instid0(VALU_DEP_2) | instskip(NEXT) | instid1(VALU_DEP_2)
	v_add_co_u32 v0, vcc_lo, v13, s4
	v_add_co_ci_u32_e32 v1, vcc_lo, s5, v14, vcc_lo
	s_delay_alu instid0(VALU_DEP_1) | instskip(SKIP_1) | instid1(VALU_DEP_1)
	v_cmp_eq_u64_e32 vcc_lo, 0, v[0:1]
	v_dual_cndmask_b32 v1, v1, v14 :: v_dual_cndmask_b32 v0, v0, v13
	v_and_b32_e32 v3, v1, v3
	s_delay_alu instid0(VALU_DEP_2) | instskip(NEXT) | instid1(VALU_DEP_2)
	v_and_b32_e32 v2, v0, v2
	v_mul_lo_u32 v3, v3, 24
	s_delay_alu instid0(VALU_DEP_2) | instskip(SKIP_1) | instid1(VALU_DEP_2)
	v_mul_hi_u32 v13, v2, 24
	v_mul_lo_u32 v2, v2, 24
	v_add_nc_u32_e32 v3, v13, v3
	s_waitcnt vmcnt(0)
	s_delay_alu instid0(VALU_DEP_2) | instskip(SKIP_1) | instid1(VALU_DEP_3)
	v_add_co_u32 v8, vcc_lo, v8, v2
	v_mov_b32_e32 v2, v11
	v_add_co_ci_u32_e32 v9, vcc_lo, v9, v3, vcc_lo
	v_mov_b32_e32 v3, v12
	global_store_b64 v[8:9], v[11:12], off
	s_waitcnt_vscnt null, 0x0
	global_atomic_cmpswap_b64 v[2:3], v10, v[0:3], s[2:3] offset:24 glc
	s_waitcnt vmcnt(0)
	v_cmp_ne_u64_e32 vcc_lo, v[2:3], v[11:12]
	s_and_b32 exec_lo, exec_lo, vcc_lo
	s_cbranch_execz .LBB3_248
; %bb.246:
	s_mov_b32 s0, 0
.LBB3_247:                              ; =>This Inner Loop Header: Depth=1
	s_sleep 1
	global_store_b64 v[8:9], v[2:3], off
	s_waitcnt_vscnt null, 0x0
	global_atomic_cmpswap_b64 v[11:12], v10, v[0:3], s[2:3] offset:24 glc
	s_waitcnt vmcnt(0)
	v_cmp_eq_u64_e32 vcc_lo, v[11:12], v[2:3]
	v_dual_mov_b32 v2, v11 :: v_dual_mov_b32 v3, v12
	s_or_b32 s0, vcc_lo, s0
	s_delay_alu instid0(SALU_CYCLE_1)
	s_and_not1_b32 exec_lo, exec_lo, s0
	s_cbranch_execnz .LBB3_247
.LBB3_248:
	s_or_b32 exec_lo, exec_lo, s1
.LBB3_249:
	v_readfirstlane_b32 s0, v35
	v_mov_b32_e32 v10, 0
	v_mov_b32_e32 v11, 0
	s_delay_alu instid0(VALU_DEP_3) | instskip(NEXT) | instid1(VALU_DEP_1)
	v_cmp_eq_u32_e64 s0, s0, v35
	s_and_saveexec_b32 s1, s0
	s_cbranch_execz .LBB3_255
; %bb.250:
	s_waitcnt vmcnt(0)
	v_mov_b32_e32 v0, 0
	s_mov_b32 s4, exec_lo
	global_load_b64 v[12:13], v0, s[2:3] offset:24 glc
	s_waitcnt vmcnt(0)
	buffer_gl1_inv
	buffer_gl0_inv
	s_clause 0x1
	global_load_b64 v[1:2], v0, s[2:3] offset:40
	global_load_b64 v[8:9], v0, s[2:3]
	s_waitcnt vmcnt(1)
	v_and_b32_e32 v1, v1, v12
	v_and_b32_e32 v2, v2, v13
	s_delay_alu instid0(VALU_DEP_2) | instskip(NEXT) | instid1(VALU_DEP_2)
	v_mul_hi_u32 v3, v1, 24
	v_mul_lo_u32 v2, v2, 24
	v_mul_lo_u32 v1, v1, 24
	s_delay_alu instid0(VALU_DEP_2) | instskip(SKIP_1) | instid1(VALU_DEP_2)
	v_add_nc_u32_e32 v2, v3, v2
	s_waitcnt vmcnt(0)
	v_add_co_u32 v1, vcc_lo, v8, v1
	s_delay_alu instid0(VALU_DEP_2)
	v_add_co_ci_u32_e32 v2, vcc_lo, v9, v2, vcc_lo
	global_load_b64 v[10:11], v[1:2], off glc
	s_waitcnt vmcnt(0)
	global_atomic_cmpswap_b64 v[10:11], v0, v[10:13], s[2:3] offset:24 glc
	s_waitcnt vmcnt(0)
	buffer_gl1_inv
	buffer_gl0_inv
	v_cmpx_ne_u64_e64 v[10:11], v[12:13]
	s_cbranch_execz .LBB3_254
; %bb.251:
	s_mov_b32 s5, 0
	.p2align	6
.LBB3_252:                              ; =>This Inner Loop Header: Depth=1
	s_sleep 1
	s_clause 0x1
	global_load_b64 v[1:2], v0, s[2:3] offset:40
	global_load_b64 v[8:9], v0, s[2:3]
	v_dual_mov_b32 v13, v11 :: v_dual_mov_b32 v12, v10
	s_waitcnt vmcnt(1)
	s_delay_alu instid0(VALU_DEP_1) | instskip(SKIP_1) | instid1(VALU_DEP_1)
	v_and_b32_e32 v1, v1, v12
	s_waitcnt vmcnt(0)
	v_mad_u64_u32 v[10:11], null, v1, 24, v[8:9]
	s_delay_alu instid0(VALU_DEP_1) | instskip(NEXT) | instid1(VALU_DEP_1)
	v_dual_mov_b32 v1, v11 :: v_dual_and_b32 v8, v2, v13
	v_mad_u64_u32 v[2:3], null, v8, 24, v[1:2]
	s_delay_alu instid0(VALU_DEP_1)
	v_mov_b32_e32 v11, v2
	global_load_b64 v[10:11], v[10:11], off glc
	s_waitcnt vmcnt(0)
	global_atomic_cmpswap_b64 v[10:11], v0, v[10:13], s[2:3] offset:24 glc
	s_waitcnt vmcnt(0)
	buffer_gl1_inv
	buffer_gl0_inv
	v_cmp_eq_u64_e32 vcc_lo, v[10:11], v[12:13]
	s_or_b32 s5, vcc_lo, s5
	s_delay_alu instid0(SALU_CYCLE_1)
	s_and_not1_b32 exec_lo, exec_lo, s5
	s_cbranch_execnz .LBB3_252
; %bb.253:
	s_or_b32 exec_lo, exec_lo, s5
.LBB3_254:
	s_delay_alu instid0(SALU_CYCLE_1)
	s_or_b32 exec_lo, exec_lo, s4
.LBB3_255:
	s_delay_alu instid0(SALU_CYCLE_1)
	s_or_b32 exec_lo, exec_lo, s1
	s_waitcnt vmcnt(0)
	v_mov_b32_e32 v9, 0
	v_readfirstlane_b32 s4, v10
	v_readfirstlane_b32 s5, v11
	s_mov_b32 s1, exec_lo
	s_clause 0x1
	global_load_b64 v[12:13], v9, s[2:3] offset:40
	global_load_b128 v[0:3], v9, s[2:3]
	s_waitcnt vmcnt(1)
	v_readfirstlane_b32 s6, v12
	v_readfirstlane_b32 s7, v13
	s_delay_alu instid0(VALU_DEP_1) | instskip(NEXT) | instid1(SALU_CYCLE_1)
	s_and_b64 s[6:7], s[4:5], s[6:7]
	s_mul_i32 s10, s7, 24
	s_mul_hi_u32 s11, s6, 24
	s_mul_i32 s12, s6, 24
	s_add_i32 s11, s11, s10
	s_waitcnt vmcnt(0)
	v_add_co_u32 v10, vcc_lo, v0, s12
	v_add_co_ci_u32_e32 v11, vcc_lo, s11, v1, vcc_lo
	s_and_saveexec_b32 s10, s0
	s_cbranch_execz .LBB3_257
; %bb.256:
	v_dual_mov_b32 v8, s1 :: v_dual_mov_b32 v15, 1
	v_dual_mov_b32 v14, 2 :: v_dual_mov_b32 v13, v9
	s_delay_alu instid0(VALU_DEP_2)
	v_mov_b32_e32 v12, v8
	global_store_b128 v[10:11], v[12:15], off offset:8
.LBB3_257:
	s_or_b32 exec_lo, exec_lo, s10
	s_lshl_b64 s[6:7], s[6:7], 12
	s_mov_b32 s12, 0
	v_add_co_u32 v2, vcc_lo, v2, s6
	v_add_co_ci_u32_e32 v3, vcc_lo, s7, v3, vcc_lo
	s_mov_b32 s15, s12
	s_delay_alu instid0(VALU_DEP_2)
	v_add_co_u32 v12, vcc_lo, v2, v34
	s_mov_b32 s13, s12
	s_mov_b32 s14, s12
	v_and_or_b32 v6, 0xffffff1f, v6, 32
	v_dual_mov_b32 v8, 0x331 :: v_dual_mov_b32 v17, s15
	v_readfirstlane_b32 s6, v2
	v_readfirstlane_b32 s7, v3
	v_add_co_ci_u32_e32 v13, vcc_lo, 0, v3, vcc_lo
	v_dual_mov_b32 v16, s14 :: v_dual_mov_b32 v15, s13
	v_mov_b32_e32 v14, s12
	s_clause 0x3
	global_store_b128 v34, v[6:9], s[6:7]
	global_store_b128 v34, v[14:17], s[6:7] offset:16
	global_store_b128 v34, v[14:17], s[6:7] offset:32
	;; [unrolled: 1-line block ×3, first 2 shown]
	s_and_saveexec_b32 s1, s0
	s_cbranch_execz .LBB3_265
; %bb.258:
	v_dual_mov_b32 v8, 0 :: v_dual_mov_b32 v15, s5
	v_mov_b32_e32 v14, s4
	s_clause 0x1
	global_load_b64 v[16:17], v8, s[2:3] offset:32 glc
	global_load_b64 v[2:3], v8, s[2:3] offset:40
	s_waitcnt vmcnt(0)
	v_readfirstlane_b32 s6, v2
	v_readfirstlane_b32 s7, v3
	s_delay_alu instid0(VALU_DEP_1) | instskip(NEXT) | instid1(SALU_CYCLE_1)
	s_and_b64 s[6:7], s[6:7], s[4:5]
	s_mul_i32 s7, s7, 24
	s_mul_hi_u32 s10, s6, 24
	s_mul_i32 s6, s6, 24
	s_add_i32 s10, s10, s7
	v_add_co_u32 v6, vcc_lo, v0, s6
	v_add_co_ci_u32_e32 v7, vcc_lo, s10, v1, vcc_lo
	s_mov_b32 s6, exec_lo
	global_store_b64 v[6:7], v[16:17], off
	s_waitcnt_vscnt null, 0x0
	global_atomic_cmpswap_b64 v[2:3], v8, v[14:17], s[2:3] offset:32 glc
	s_waitcnt vmcnt(0)
	v_cmpx_ne_u64_e64 v[2:3], v[16:17]
	s_cbranch_execz .LBB3_261
; %bb.259:
	s_mov_b32 s7, 0
.LBB3_260:                              ; =>This Inner Loop Header: Depth=1
	v_dual_mov_b32 v0, s4 :: v_dual_mov_b32 v1, s5
	s_sleep 1
	global_store_b64 v[6:7], v[2:3], off
	s_waitcnt_vscnt null, 0x0
	global_atomic_cmpswap_b64 v[0:1], v8, v[0:3], s[2:3] offset:32 glc
	s_waitcnt vmcnt(0)
	v_cmp_eq_u64_e32 vcc_lo, v[0:1], v[2:3]
	v_dual_mov_b32 v3, v1 :: v_dual_mov_b32 v2, v0
	s_or_b32 s7, vcc_lo, s7
	s_delay_alu instid0(SALU_CYCLE_1)
	s_and_not1_b32 exec_lo, exec_lo, s7
	s_cbranch_execnz .LBB3_260
.LBB3_261:
	s_or_b32 exec_lo, exec_lo, s6
	v_mov_b32_e32 v3, 0
	s_mov_b32 s7, exec_lo
	s_mov_b32 s6, exec_lo
	v_mbcnt_lo_u32_b32 v2, s7, 0
	global_load_b64 v[0:1], v3, s[2:3] offset:16
	v_cmpx_eq_u32_e32 0, v2
	s_cbranch_execz .LBB3_263
; %bb.262:
	s_bcnt1_i32_b32 s7, s7
	s_delay_alu instid0(SALU_CYCLE_1)
	v_mov_b32_e32 v2, s7
	s_waitcnt vmcnt(0)
	global_atomic_add_u64 v[0:1], v[2:3], off offset:8
.LBB3_263:
	s_or_b32 exec_lo, exec_lo, s6
	s_waitcnt vmcnt(0)
	global_load_b64 v[2:3], v[0:1], off offset:16
	s_waitcnt vmcnt(0)
	v_cmp_eq_u64_e32 vcc_lo, 0, v[2:3]
	s_cbranch_vccnz .LBB3_265
; %bb.264:
	global_load_b32 v0, v[0:1], off offset:24
	s_waitcnt vmcnt(0)
	v_dual_mov_b32 v1, 0 :: v_dual_and_b32 v6, 0xffffff, v0
	s_waitcnt_vscnt null, 0x0
	global_store_b64 v[2:3], v[0:1], off
	v_readfirstlane_b32 m0, v6
	s_sendmsg sendmsg(MSG_INTERRUPT)
.LBB3_265:
	s_or_b32 exec_lo, exec_lo, s1
	s_branch .LBB3_269
	.p2align	6
.LBB3_266:                              ;   in Loop: Header=BB3_269 Depth=1
	s_or_b32 exec_lo, exec_lo, s1
	s_delay_alu instid0(VALU_DEP_1) | instskip(NEXT) | instid1(VALU_DEP_1)
	v_readfirstlane_b32 s1, v0
	s_cmp_eq_u32 s1, 0
	s_cbranch_scc1 .LBB3_268
; %bb.267:                              ;   in Loop: Header=BB3_269 Depth=1
	s_sleep 1
	s_cbranch_execnz .LBB3_269
	s_branch .LBB3_271
	.p2align	6
.LBB3_268:
	s_branch .LBB3_271
.LBB3_269:                              ; =>This Inner Loop Header: Depth=1
	v_mov_b32_e32 v0, 1
	s_and_saveexec_b32 s1, s0
	s_cbranch_execz .LBB3_266
; %bb.270:                              ;   in Loop: Header=BB3_269 Depth=1
	global_load_b32 v0, v[10:11], off offset:20 glc
	s_waitcnt vmcnt(0)
	buffer_gl1_inv
	buffer_gl0_inv
	v_and_b32_e32 v0, 1, v0
	s_branch .LBB3_266
.LBB3_271:
	global_load_b64 v[0:1], v[12:13], off
	s_and_saveexec_b32 s1, s0
	s_cbranch_execz .LBB3_275
; %bb.272:
	v_mov_b32_e32 v10, 0
	s_clause 0x2
	global_load_b64 v[2:3], v10, s[2:3] offset:40
	global_load_b64 v[11:12], v10, s[2:3] offset:24 glc
	global_load_b64 v[8:9], v10, s[2:3]
	s_waitcnt vmcnt(2)
	v_add_co_u32 v13, vcc_lo, v2, 1
	v_add_co_ci_u32_e32 v14, vcc_lo, 0, v3, vcc_lo
	s_delay_alu instid0(VALU_DEP_2) | instskip(NEXT) | instid1(VALU_DEP_2)
	v_add_co_u32 v6, vcc_lo, v13, s4
	v_add_co_ci_u32_e32 v7, vcc_lo, s5, v14, vcc_lo
	s_delay_alu instid0(VALU_DEP_1) | instskip(SKIP_1) | instid1(VALU_DEP_1)
	v_cmp_eq_u64_e32 vcc_lo, 0, v[6:7]
	v_dual_cndmask_b32 v7, v7, v14 :: v_dual_cndmask_b32 v6, v6, v13
	v_and_b32_e32 v3, v7, v3
	s_delay_alu instid0(VALU_DEP_2) | instskip(NEXT) | instid1(VALU_DEP_2)
	v_and_b32_e32 v2, v6, v2
	v_mul_lo_u32 v3, v3, 24
	s_delay_alu instid0(VALU_DEP_2) | instskip(SKIP_1) | instid1(VALU_DEP_2)
	v_mul_hi_u32 v13, v2, 24
	v_mul_lo_u32 v2, v2, 24
	v_add_nc_u32_e32 v3, v13, v3
	s_waitcnt vmcnt(0)
	s_delay_alu instid0(VALU_DEP_2) | instskip(SKIP_1) | instid1(VALU_DEP_3)
	v_add_co_u32 v2, vcc_lo, v8, v2
	v_mov_b32_e32 v8, v11
	v_add_co_ci_u32_e32 v3, vcc_lo, v9, v3, vcc_lo
	v_mov_b32_e32 v9, v12
	global_store_b64 v[2:3], v[11:12], off
	s_waitcnt_vscnt null, 0x0
	global_atomic_cmpswap_b64 v[8:9], v10, v[6:9], s[2:3] offset:24 glc
	s_waitcnt vmcnt(0)
	v_cmp_ne_u64_e32 vcc_lo, v[8:9], v[11:12]
	s_and_b32 exec_lo, exec_lo, vcc_lo
	s_cbranch_execz .LBB3_275
; %bb.273:
	s_mov_b32 s0, 0
.LBB3_274:                              ; =>This Inner Loop Header: Depth=1
	s_sleep 1
	global_store_b64 v[2:3], v[8:9], off
	s_waitcnt_vscnt null, 0x0
	global_atomic_cmpswap_b64 v[11:12], v10, v[6:9], s[2:3] offset:24 glc
	s_waitcnt vmcnt(0)
	v_cmp_eq_u64_e32 vcc_lo, v[11:12], v[8:9]
	v_dual_mov_b32 v8, v11 :: v_dual_mov_b32 v9, v12
	s_or_b32 s0, vcc_lo, s0
	s_delay_alu instid0(SALU_CYCLE_1)
	s_and_not1_b32 exec_lo, exec_lo, s0
	s_cbranch_execnz .LBB3_274
.LBB3_275:
	s_or_b32 exec_lo, exec_lo, s1
	v_dual_mov_b32 v7, v5 :: v_dual_mov_b32 v6, v4
	s_mov_b32 s0, 0
.LBB3_276:                              ; =>This Inner Loop Header: Depth=1
	flat_load_u8 v8, v[6:7]
	v_add_co_u32 v2, vcc_lo, v6, 1
	v_add_co_ci_u32_e32 v3, vcc_lo, 0, v7, vcc_lo
	s_delay_alu instid0(VALU_DEP_1) | instskip(SKIP_3) | instid1(SALU_CYCLE_1)
	v_dual_mov_b32 v7, v3 :: v_dual_mov_b32 v6, v2
	s_waitcnt vmcnt(0) lgkmcnt(0)
	v_cmp_eq_u16_e32 vcc_lo, 0, v8
	s_or_b32 s0, vcc_lo, s0
	s_and_not1_b32 exec_lo, exec_lo, s0
	s_cbranch_execnz .LBB3_276
; %bb.277:
	s_or_b32 exec_lo, exec_lo, s0
	s_delay_alu instid0(SALU_CYCLE_1)
	s_mov_b32 s0, exec_lo
	v_cmpx_ne_u64_e32 0, v[4:5]
	s_xor_b32 s10, exec_lo, s0
	s_cbranch_execz .LBB3_363
; %bb.278:
	v_sub_nc_u32_e32 v26, v2, v4
	v_dual_mov_b32 v7, 0 :: v_dual_and_b32 v32, 2, v0
	v_dual_mov_b32 v9, 1 :: v_dual_and_b32 v0, -3, v0
	v_mov_b32_e32 v8, 2
	s_delay_alu instid0(VALU_DEP_4)
	v_ashrrev_i32_e32 v27, 31, v26
	s_mov_b32 s12, 0
	s_mov_b32 s11, 0
	s_branch .LBB3_280
.LBB3_279:                              ;   in Loop: Header=BB3_280 Depth=1
	s_or_b32 exec_lo, exec_lo, s1
	v_sub_co_u32 v26, vcc_lo, v26, v28
	v_sub_co_ci_u32_e32 v27, vcc_lo, v27, v29, vcc_lo
	v_add_co_u32 v4, s0, v4, v28
	s_delay_alu instid0(VALU_DEP_1) | instskip(NEXT) | instid1(VALU_DEP_3)
	v_add_co_ci_u32_e64 v5, s0, v5, v29, s0
	v_cmp_eq_u64_e32 vcc_lo, 0, v[26:27]
	s_or_b32 s11, vcc_lo, s11
	s_delay_alu instid0(SALU_CYCLE_1)
	s_and_not1_b32 exec_lo, exec_lo, s11
	s_cbranch_execz .LBB3_362
.LBB3_280:                              ; =>This Loop Header: Depth=1
                                        ;     Child Loop BB3_283 Depth 2
                                        ;     Child Loop BB3_291 Depth 2
	;; [unrolled: 1-line block ×11, first 2 shown]
	s_delay_alu instid0(VALU_DEP_1)
	v_cmp_gt_u64_e32 vcc_lo, 56, v[26:27]
	s_mov_b32 s1, exec_lo
                                        ; implicit-def: $vgpr2_vgpr3
                                        ; implicit-def: $sgpr4
	v_dual_cndmask_b32 v29, 0, v27 :: v_dual_cndmask_b32 v28, 56, v26
	v_cmpx_gt_u64_e32 8, v[26:27]
	s_xor_b32 s1, exec_lo, s1
	s_cbranch_execz .LBB3_286
; %bb.281:                              ;   in Loop: Header=BB3_280 Depth=1
	s_waitcnt vmcnt(0)
	v_mov_b32_e32 v2, 0
	v_mov_b32_e32 v3, 0
	s_mov_b64 s[4:5], 0
	s_mov_b32 s6, exec_lo
	v_cmpx_ne_u64_e32 0, v[26:27]
	s_cbranch_execz .LBB3_285
; %bb.282:                              ;   in Loop: Header=BB3_280 Depth=1
	v_lshlrev_b64 v[10:11], 3, v[28:29]
	v_mov_b32_e32 v2, 0
	v_dual_mov_b32 v3, 0 :: v_dual_mov_b32 v12, v5
	v_mov_b32_e32 v11, v4
	s_mov_b32 s7, 0
	.p2align	6
.LBB3_283:                              ;   Parent Loop BB3_280 Depth=1
                                        ; =>  This Inner Loop Header: Depth=2
	flat_load_u8 v6, v[11:12]
	v_mov_b32_e32 v14, s12
	v_add_co_u32 v11, vcc_lo, v11, 1
	v_add_co_ci_u32_e32 v12, vcc_lo, 0, v12, vcc_lo
	s_waitcnt vmcnt(0) lgkmcnt(0)
	v_and_b32_e32 v13, 0xffff, v6
	s_delay_alu instid0(VALU_DEP_1) | instskip(SKIP_3) | instid1(VALU_DEP_2)
	v_lshlrev_b64 v[13:14], s4, v[13:14]
	s_add_u32 s4, s4, 8
	s_addc_u32 s5, s5, 0
	v_cmp_eq_u32_e64 s0, s4, v10
	v_or_b32_e32 v3, v14, v3
	s_delay_alu instid0(VALU_DEP_3) | instskip(NEXT) | instid1(VALU_DEP_3)
	v_or_b32_e32 v2, v13, v2
	s_or_b32 s7, s0, s7
	s_delay_alu instid0(SALU_CYCLE_1)
	s_and_not1_b32 exec_lo, exec_lo, s7
	s_cbranch_execnz .LBB3_283
; %bb.284:                              ;   in Loop: Header=BB3_280 Depth=1
	s_or_b32 exec_lo, exec_lo, s7
.LBB3_285:                              ;   in Loop: Header=BB3_280 Depth=1
	s_delay_alu instid0(SALU_CYCLE_1)
	s_or_b32 exec_lo, exec_lo, s6
	s_mov_b32 s4, 0
.LBB3_286:                              ;   in Loop: Header=BB3_280 Depth=1
	s_or_saveexec_b32 s0, s1
	v_dual_mov_b32 v6, s4 :: v_dual_mov_b32 v23, v5
	v_mov_b32_e32 v22, v4
	s_xor_b32 exec_lo, exec_lo, s0
	s_cbranch_execz .LBB3_288
; %bb.287:                              ;   in Loop: Header=BB3_280 Depth=1
	s_waitcnt vmcnt(0)
	flat_load_b64 v[2:3], v[4:5]
	v_add_co_u32 v22, vcc_lo, v4, 8
	v_add_co_ci_u32_e32 v23, vcc_lo, 0, v5, vcc_lo
	s_waitcnt vmcnt(0) lgkmcnt(0)
	v_and_b32_e32 v6, 0xff, v3
	v_and_b32_e32 v10, 0xff00, v3
	;; [unrolled: 1-line block ×4, first 2 shown]
	v_or3_b32 v2, v2, 0, 0
	s_delay_alu instid0(VALU_DEP_4) | instskip(SKIP_1) | instid1(VALU_DEP_2)
	v_or_b32_e32 v10, v6, v10
	v_add_nc_u32_e32 v6, -8, v28
	v_or3_b32 v3, v10, v11, v3
.LBB3_288:                              ;   in Loop: Header=BB3_280 Depth=1
	s_or_b32 exec_lo, exec_lo, s0
                                        ; implicit-def: $vgpr10_vgpr11
                                        ; implicit-def: $sgpr1
	s_delay_alu instid0(SALU_CYCLE_1) | instskip(NEXT) | instid1(VALU_DEP_2)
	s_mov_b32 s0, exec_lo
	v_cmpx_gt_u32_e32 8, v6
	s_xor_b32 s6, exec_lo, s0
	s_cbranch_execz .LBB3_294
; %bb.289:                              ;   in Loop: Header=BB3_280 Depth=1
	v_mov_b32_e32 v10, 0
	v_mov_b32_e32 v11, 0
	s_mov_b32 s7, exec_lo
	v_cmpx_ne_u32_e32 0, v6
	s_cbranch_execz .LBB3_293
; %bb.290:                              ;   in Loop: Header=BB3_280 Depth=1
	v_mov_b32_e32 v10, 0
	v_mov_b32_e32 v11, 0
	s_mov_b64 s[0:1], 0
	s_mov_b32 s13, 0
	s_mov_b64 s[4:5], 0
	.p2align	6
.LBB3_291:                              ;   Parent Loop BB3_280 Depth=1
                                        ; =>  This Inner Loop Header: Depth=2
	s_delay_alu instid0(SALU_CYCLE_1)
	v_add_co_u32 v12, vcc_lo, v22, s4
	v_add_co_ci_u32_e32 v13, vcc_lo, s5, v23, vcc_lo
	s_add_u32 s4, s4, 1
	s_addc_u32 s5, s5, 0
	v_cmp_eq_u32_e32 vcc_lo, s4, v6
	flat_load_u8 v12, v[12:13]
	s_waitcnt vmcnt(0) lgkmcnt(0)
	v_dual_mov_b32 v13, s12 :: v_dual_and_b32 v12, 0xffff, v12
	s_delay_alu instid0(VALU_DEP_1) | instskip(SKIP_3) | instid1(VALU_DEP_1)
	v_lshlrev_b64 v[12:13], s0, v[12:13]
	s_add_u32 s0, s0, 8
	s_addc_u32 s1, s1, 0
	s_or_b32 s13, vcc_lo, s13
	v_or_b32_e32 v11, v13, v11
	s_delay_alu instid0(VALU_DEP_2)
	v_or_b32_e32 v10, v12, v10
	s_and_not1_b32 exec_lo, exec_lo, s13
	s_cbranch_execnz .LBB3_291
; %bb.292:                              ;   in Loop: Header=BB3_280 Depth=1
	s_or_b32 exec_lo, exec_lo, s13
.LBB3_293:                              ;   in Loop: Header=BB3_280 Depth=1
	s_delay_alu instid0(SALU_CYCLE_1)
	s_or_b32 exec_lo, exec_lo, s7
	s_mov_b32 s1, 0
                                        ; implicit-def: $vgpr6
.LBB3_294:                              ;   in Loop: Header=BB3_280 Depth=1
	s_or_saveexec_b32 s0, s6
	v_mov_b32_e32 v14, s1
	s_xor_b32 exec_lo, exec_lo, s0
	s_cbranch_execz .LBB3_296
; %bb.295:                              ;   in Loop: Header=BB3_280 Depth=1
	flat_load_b64 v[10:11], v[22:23]
	v_add_co_u32 v22, vcc_lo, v22, 8
	v_add_nc_u32_e32 v14, -8, v6
	v_add_co_ci_u32_e32 v23, vcc_lo, 0, v23, vcc_lo
	s_waitcnt vmcnt(0) lgkmcnt(0)
	v_and_b32_e32 v12, 0xff, v11
	v_and_b32_e32 v13, 0xff00, v11
	;; [unrolled: 1-line block ×4, first 2 shown]
	v_or3_b32 v10, v10, 0, 0
	s_delay_alu instid0(VALU_DEP_4) | instskip(NEXT) | instid1(VALU_DEP_1)
	v_or_b32_e32 v12, v12, v13
	v_or3_b32 v11, v12, v15, v11
.LBB3_296:                              ;   in Loop: Header=BB3_280 Depth=1
	s_or_b32 exec_lo, exec_lo, s0
                                        ; implicit-def: $sgpr1
	s_delay_alu instid0(SALU_CYCLE_1)
	s_mov_b32 s0, exec_lo
	v_cmpx_gt_u32_e32 8, v14
	s_xor_b32 s6, exec_lo, s0
	s_cbranch_execz .LBB3_302
; %bb.297:                              ;   in Loop: Header=BB3_280 Depth=1
	v_mov_b32_e32 v12, 0
	v_mov_b32_e32 v13, 0
	s_mov_b32 s7, exec_lo
	v_cmpx_ne_u32_e32 0, v14
	s_cbranch_execz .LBB3_301
; %bb.298:                              ;   in Loop: Header=BB3_280 Depth=1
	v_mov_b32_e32 v12, 0
	v_mov_b32_e32 v13, 0
	s_mov_b64 s[0:1], 0
	s_mov_b32 s13, 0
	s_mov_b64 s[4:5], 0
	.p2align	6
.LBB3_299:                              ;   Parent Loop BB3_280 Depth=1
                                        ; =>  This Inner Loop Header: Depth=2
	s_delay_alu instid0(SALU_CYCLE_1)
	v_add_co_u32 v15, vcc_lo, v22, s4
	v_add_co_ci_u32_e32 v16, vcc_lo, s5, v23, vcc_lo
	s_add_u32 s4, s4, 1
	s_addc_u32 s5, s5, 0
	v_cmp_eq_u32_e32 vcc_lo, s4, v14
	flat_load_u8 v6, v[15:16]
	s_waitcnt vmcnt(0) lgkmcnt(0)
	v_dual_mov_b32 v16, s12 :: v_dual_and_b32 v15, 0xffff, v6
	s_delay_alu instid0(VALU_DEP_1) | instskip(SKIP_3) | instid1(VALU_DEP_1)
	v_lshlrev_b64 v[15:16], s0, v[15:16]
	s_add_u32 s0, s0, 8
	s_addc_u32 s1, s1, 0
	s_or_b32 s13, vcc_lo, s13
	v_or_b32_e32 v13, v16, v13
	s_delay_alu instid0(VALU_DEP_2)
	v_or_b32_e32 v12, v15, v12
	s_and_not1_b32 exec_lo, exec_lo, s13
	s_cbranch_execnz .LBB3_299
; %bb.300:                              ;   in Loop: Header=BB3_280 Depth=1
	s_or_b32 exec_lo, exec_lo, s13
.LBB3_301:                              ;   in Loop: Header=BB3_280 Depth=1
	s_delay_alu instid0(SALU_CYCLE_1)
	s_or_b32 exec_lo, exec_lo, s7
	s_mov_b32 s1, 0
                                        ; implicit-def: $vgpr14
.LBB3_302:                              ;   in Loop: Header=BB3_280 Depth=1
	s_or_saveexec_b32 s0, s6
	v_mov_b32_e32 v6, s1
	s_xor_b32 exec_lo, exec_lo, s0
	s_cbranch_execz .LBB3_304
; %bb.303:                              ;   in Loop: Header=BB3_280 Depth=1
	flat_load_b64 v[12:13], v[22:23]
	v_add_co_u32 v22, vcc_lo, v22, 8
	v_add_co_ci_u32_e32 v23, vcc_lo, 0, v23, vcc_lo
	s_waitcnt vmcnt(0) lgkmcnt(0)
	v_and_b32_e32 v6, 0xff, v13
	v_and_b32_e32 v15, 0xff00, v13
	;; [unrolled: 1-line block ×4, first 2 shown]
	v_or3_b32 v12, v12, 0, 0
	s_delay_alu instid0(VALU_DEP_4) | instskip(SKIP_1) | instid1(VALU_DEP_2)
	v_or_b32_e32 v15, v6, v15
	v_add_nc_u32_e32 v6, -8, v14
	v_or3_b32 v13, v15, v16, v13
.LBB3_304:                              ;   in Loop: Header=BB3_280 Depth=1
	s_or_b32 exec_lo, exec_lo, s0
                                        ; implicit-def: $vgpr14_vgpr15
                                        ; implicit-def: $sgpr1
	s_delay_alu instid0(SALU_CYCLE_1) | instskip(NEXT) | instid1(VALU_DEP_1)
	s_mov_b32 s0, exec_lo
	v_cmpx_gt_u32_e32 8, v6
	s_xor_b32 s6, exec_lo, s0
	s_cbranch_execz .LBB3_310
; %bb.305:                              ;   in Loop: Header=BB3_280 Depth=1
	v_mov_b32_e32 v14, 0
	v_mov_b32_e32 v15, 0
	s_mov_b32 s7, exec_lo
	v_cmpx_ne_u32_e32 0, v6
	s_cbranch_execz .LBB3_309
; %bb.306:                              ;   in Loop: Header=BB3_280 Depth=1
	v_mov_b32_e32 v14, 0
	v_mov_b32_e32 v15, 0
	s_mov_b64 s[0:1], 0
	s_mov_b32 s13, 0
	s_mov_b64 s[4:5], 0
	.p2align	6
.LBB3_307:                              ;   Parent Loop BB3_280 Depth=1
                                        ; =>  This Inner Loop Header: Depth=2
	s_delay_alu instid0(SALU_CYCLE_1)
	v_add_co_u32 v16, vcc_lo, v22, s4
	v_add_co_ci_u32_e32 v17, vcc_lo, s5, v23, vcc_lo
	s_add_u32 s4, s4, 1
	s_addc_u32 s5, s5, 0
	v_cmp_eq_u32_e32 vcc_lo, s4, v6
	flat_load_u8 v16, v[16:17]
	s_waitcnt vmcnt(0) lgkmcnt(0)
	v_dual_mov_b32 v17, s12 :: v_dual_and_b32 v16, 0xffff, v16
	s_delay_alu instid0(VALU_DEP_1) | instskip(SKIP_3) | instid1(VALU_DEP_1)
	v_lshlrev_b64 v[16:17], s0, v[16:17]
	s_add_u32 s0, s0, 8
	s_addc_u32 s1, s1, 0
	s_or_b32 s13, vcc_lo, s13
	v_or_b32_e32 v15, v17, v15
	s_delay_alu instid0(VALU_DEP_2)
	v_or_b32_e32 v14, v16, v14
	s_and_not1_b32 exec_lo, exec_lo, s13
	s_cbranch_execnz .LBB3_307
; %bb.308:                              ;   in Loop: Header=BB3_280 Depth=1
	s_or_b32 exec_lo, exec_lo, s13
.LBB3_309:                              ;   in Loop: Header=BB3_280 Depth=1
	s_delay_alu instid0(SALU_CYCLE_1)
	s_or_b32 exec_lo, exec_lo, s7
	s_mov_b32 s1, 0
                                        ; implicit-def: $vgpr6
.LBB3_310:                              ;   in Loop: Header=BB3_280 Depth=1
	s_or_saveexec_b32 s0, s6
	v_mov_b32_e32 v18, s1
	s_xor_b32 exec_lo, exec_lo, s0
	s_cbranch_execz .LBB3_312
; %bb.311:                              ;   in Loop: Header=BB3_280 Depth=1
	flat_load_b64 v[14:15], v[22:23]
	v_add_co_u32 v22, vcc_lo, v22, 8
	v_add_nc_u32_e32 v18, -8, v6
	v_add_co_ci_u32_e32 v23, vcc_lo, 0, v23, vcc_lo
	s_waitcnt vmcnt(0) lgkmcnt(0)
	v_and_b32_e32 v16, 0xff, v15
	v_and_b32_e32 v17, 0xff00, v15
	;; [unrolled: 1-line block ×4, first 2 shown]
	v_or3_b32 v14, v14, 0, 0
	s_delay_alu instid0(VALU_DEP_4) | instskip(NEXT) | instid1(VALU_DEP_1)
	v_or_b32_e32 v16, v16, v17
	v_or3_b32 v15, v16, v19, v15
.LBB3_312:                              ;   in Loop: Header=BB3_280 Depth=1
	s_or_b32 exec_lo, exec_lo, s0
                                        ; implicit-def: $sgpr1
	s_delay_alu instid0(SALU_CYCLE_1)
	s_mov_b32 s0, exec_lo
	v_cmpx_gt_u32_e32 8, v18
	s_xor_b32 s6, exec_lo, s0
	s_cbranch_execz .LBB3_318
; %bb.313:                              ;   in Loop: Header=BB3_280 Depth=1
	v_mov_b32_e32 v16, 0
	v_mov_b32_e32 v17, 0
	s_mov_b32 s7, exec_lo
	v_cmpx_ne_u32_e32 0, v18
	s_cbranch_execz .LBB3_317
; %bb.314:                              ;   in Loop: Header=BB3_280 Depth=1
	v_mov_b32_e32 v16, 0
	v_mov_b32_e32 v17, 0
	s_mov_b64 s[0:1], 0
	s_mov_b32 s13, 0
	s_mov_b64 s[4:5], 0
	.p2align	6
.LBB3_315:                              ;   Parent Loop BB3_280 Depth=1
                                        ; =>  This Inner Loop Header: Depth=2
	s_delay_alu instid0(SALU_CYCLE_1)
	v_add_co_u32 v19, vcc_lo, v22, s4
	v_add_co_ci_u32_e32 v20, vcc_lo, s5, v23, vcc_lo
	s_add_u32 s4, s4, 1
	s_addc_u32 s5, s5, 0
	v_cmp_eq_u32_e32 vcc_lo, s4, v18
	flat_load_u8 v6, v[19:20]
	s_waitcnt vmcnt(0) lgkmcnt(0)
	v_dual_mov_b32 v20, s12 :: v_dual_and_b32 v19, 0xffff, v6
	s_delay_alu instid0(VALU_DEP_1) | instskip(SKIP_3) | instid1(VALU_DEP_1)
	v_lshlrev_b64 v[19:20], s0, v[19:20]
	s_add_u32 s0, s0, 8
	s_addc_u32 s1, s1, 0
	s_or_b32 s13, vcc_lo, s13
	v_or_b32_e32 v17, v20, v17
	s_delay_alu instid0(VALU_DEP_2)
	v_or_b32_e32 v16, v19, v16
	s_and_not1_b32 exec_lo, exec_lo, s13
	s_cbranch_execnz .LBB3_315
; %bb.316:                              ;   in Loop: Header=BB3_280 Depth=1
	s_or_b32 exec_lo, exec_lo, s13
.LBB3_317:                              ;   in Loop: Header=BB3_280 Depth=1
	s_delay_alu instid0(SALU_CYCLE_1)
	s_or_b32 exec_lo, exec_lo, s7
	s_mov_b32 s1, 0
                                        ; implicit-def: $vgpr18
.LBB3_318:                              ;   in Loop: Header=BB3_280 Depth=1
	s_or_saveexec_b32 s0, s6
	v_mov_b32_e32 v6, s1
	s_xor_b32 exec_lo, exec_lo, s0
	s_cbranch_execz .LBB3_320
; %bb.319:                              ;   in Loop: Header=BB3_280 Depth=1
	flat_load_b64 v[16:17], v[22:23]
	v_add_co_u32 v22, vcc_lo, v22, 8
	v_add_co_ci_u32_e32 v23, vcc_lo, 0, v23, vcc_lo
	s_waitcnt vmcnt(0) lgkmcnt(0)
	v_and_b32_e32 v6, 0xff, v17
	v_and_b32_e32 v19, 0xff00, v17
	;; [unrolled: 1-line block ×4, first 2 shown]
	v_or3_b32 v16, v16, 0, 0
	s_delay_alu instid0(VALU_DEP_4) | instskip(SKIP_1) | instid1(VALU_DEP_2)
	v_or_b32_e32 v19, v6, v19
	v_add_nc_u32_e32 v6, -8, v18
	v_or3_b32 v17, v19, v20, v17
.LBB3_320:                              ;   in Loop: Header=BB3_280 Depth=1
	s_or_b32 exec_lo, exec_lo, s0
                                        ; implicit-def: $vgpr18_vgpr19
                                        ; implicit-def: $sgpr1
	s_delay_alu instid0(SALU_CYCLE_1) | instskip(NEXT) | instid1(VALU_DEP_1)
	s_mov_b32 s0, exec_lo
	v_cmpx_gt_u32_e32 8, v6
	s_xor_b32 s6, exec_lo, s0
	s_cbranch_execz .LBB3_326
; %bb.321:                              ;   in Loop: Header=BB3_280 Depth=1
	v_mov_b32_e32 v18, 0
	v_mov_b32_e32 v19, 0
	s_mov_b32 s7, exec_lo
	v_cmpx_ne_u32_e32 0, v6
	s_cbranch_execz .LBB3_325
; %bb.322:                              ;   in Loop: Header=BB3_280 Depth=1
	v_mov_b32_e32 v18, 0
	v_mov_b32_e32 v19, 0
	s_mov_b64 s[0:1], 0
	s_mov_b32 s13, 0
	s_mov_b64 s[4:5], 0
	.p2align	6
.LBB3_323:                              ;   Parent Loop BB3_280 Depth=1
                                        ; =>  This Inner Loop Header: Depth=2
	s_delay_alu instid0(SALU_CYCLE_1)
	v_add_co_u32 v20, vcc_lo, v22, s4
	v_add_co_ci_u32_e32 v21, vcc_lo, s5, v23, vcc_lo
	s_add_u32 s4, s4, 1
	s_addc_u32 s5, s5, 0
	v_cmp_eq_u32_e32 vcc_lo, s4, v6
	flat_load_u8 v20, v[20:21]
	s_waitcnt vmcnt(0) lgkmcnt(0)
	v_dual_mov_b32 v21, s12 :: v_dual_and_b32 v20, 0xffff, v20
	s_delay_alu instid0(VALU_DEP_1) | instskip(SKIP_3) | instid1(VALU_DEP_1)
	v_lshlrev_b64 v[20:21], s0, v[20:21]
	s_add_u32 s0, s0, 8
	s_addc_u32 s1, s1, 0
	s_or_b32 s13, vcc_lo, s13
	v_or_b32_e32 v19, v21, v19
	s_delay_alu instid0(VALU_DEP_2)
	v_or_b32_e32 v18, v20, v18
	s_and_not1_b32 exec_lo, exec_lo, s13
	s_cbranch_execnz .LBB3_323
; %bb.324:                              ;   in Loop: Header=BB3_280 Depth=1
	s_or_b32 exec_lo, exec_lo, s13
.LBB3_325:                              ;   in Loop: Header=BB3_280 Depth=1
	s_delay_alu instid0(SALU_CYCLE_1)
	s_or_b32 exec_lo, exec_lo, s7
	s_mov_b32 s1, 0
                                        ; implicit-def: $vgpr6
.LBB3_326:                              ;   in Loop: Header=BB3_280 Depth=1
	s_or_saveexec_b32 s0, s6
	v_mov_b32_e32 v24, s1
	s_xor_b32 exec_lo, exec_lo, s0
	s_cbranch_execz .LBB3_328
; %bb.327:                              ;   in Loop: Header=BB3_280 Depth=1
	flat_load_b64 v[18:19], v[22:23]
	v_add_co_u32 v22, vcc_lo, v22, 8
	v_add_nc_u32_e32 v24, -8, v6
	v_add_co_ci_u32_e32 v23, vcc_lo, 0, v23, vcc_lo
	s_waitcnt vmcnt(0) lgkmcnt(0)
	v_and_b32_e32 v20, 0xff, v19
	v_and_b32_e32 v21, 0xff00, v19
	;; [unrolled: 1-line block ×4, first 2 shown]
	v_or3_b32 v18, v18, 0, 0
	s_delay_alu instid0(VALU_DEP_4) | instskip(NEXT) | instid1(VALU_DEP_1)
	v_or_b32_e32 v20, v20, v21
	v_or3_b32 v19, v20, v25, v19
.LBB3_328:                              ;   in Loop: Header=BB3_280 Depth=1
	s_or_b32 exec_lo, exec_lo, s0
	s_delay_alu instid0(SALU_CYCLE_1)
	s_mov_b32 s0, exec_lo
	v_cmpx_gt_u32_e32 8, v24
	s_xor_b32 s4, exec_lo, s0
	s_cbranch_execz .LBB3_334
; %bb.329:                              ;   in Loop: Header=BB3_280 Depth=1
	v_mov_b32_e32 v20, 0
	v_mov_b32_e32 v21, 0
	s_mov_b32 s5, exec_lo
	v_cmpx_ne_u32_e32 0, v24
	s_cbranch_execz .LBB3_333
; %bb.330:                              ;   in Loop: Header=BB3_280 Depth=1
	v_mov_b32_e32 v20, 0
	v_mov_b32_e32 v21, 0
	s_mov_b64 s[0:1], 0
	s_mov_b32 s6, 0
	.p2align	6
.LBB3_331:                              ;   Parent Loop BB3_280 Depth=1
                                        ; =>  This Inner Loop Header: Depth=2
	flat_load_u8 v6, v[22:23]
	v_dual_mov_b32 v31, s12 :: v_dual_add_nc_u32 v24, -1, v24
	v_add_co_u32 v22, vcc_lo, v22, 1
	v_add_co_ci_u32_e32 v23, vcc_lo, 0, v23, vcc_lo
	s_delay_alu instid0(VALU_DEP_3) | instskip(SKIP_2) | instid1(VALU_DEP_1)
	v_cmp_eq_u32_e32 vcc_lo, 0, v24
	s_waitcnt vmcnt(0) lgkmcnt(0)
	v_and_b32_e32 v30, 0xffff, v6
	v_lshlrev_b64 v[30:31], s0, v[30:31]
	s_add_u32 s0, s0, 8
	s_addc_u32 s1, s1, 0
	s_or_b32 s6, vcc_lo, s6
	s_delay_alu instid0(VALU_DEP_1) | instskip(NEXT) | instid1(VALU_DEP_2)
	v_or_b32_e32 v21, v31, v21
	v_or_b32_e32 v20, v30, v20
	s_and_not1_b32 exec_lo, exec_lo, s6
	s_cbranch_execnz .LBB3_331
; %bb.332:                              ;   in Loop: Header=BB3_280 Depth=1
	s_or_b32 exec_lo, exec_lo, s6
.LBB3_333:                              ;   in Loop: Header=BB3_280 Depth=1
	s_delay_alu instid0(SALU_CYCLE_1)
	s_or_b32 exec_lo, exec_lo, s5
                                        ; implicit-def: $vgpr22_vgpr23
.LBB3_334:                              ;   in Loop: Header=BB3_280 Depth=1
	s_and_not1_saveexec_b32 s0, s4
	s_cbranch_execz .LBB3_336
; %bb.335:                              ;   in Loop: Header=BB3_280 Depth=1
	flat_load_b64 v[20:21], v[22:23]
	s_waitcnt vmcnt(0) lgkmcnt(0)
	v_and_b32_e32 v6, 0xff, v21
	v_and_b32_e32 v22, 0xff00, v21
	;; [unrolled: 1-line block ×4, first 2 shown]
	v_or3_b32 v20, v20, 0, 0
	s_delay_alu instid0(VALU_DEP_4) | instskip(NEXT) | instid1(VALU_DEP_1)
	v_or_b32_e32 v6, v6, v22
	v_or3_b32 v21, v6, v23, v21
.LBB3_336:                              ;   in Loop: Header=BB3_280 Depth=1
	s_or_b32 exec_lo, exec_lo, s0
	v_readfirstlane_b32 s0, v35
	v_mov_b32_e32 v30, 0
	v_mov_b32_e32 v31, 0
	s_delay_alu instid0(VALU_DEP_3) | instskip(NEXT) | instid1(VALU_DEP_1)
	v_cmp_eq_u32_e64 s0, s0, v35
	s_and_saveexec_b32 s1, s0
	s_cbranch_execz .LBB3_342
; %bb.337:                              ;   in Loop: Header=BB3_280 Depth=1
	global_load_b64 v[24:25], v7, s[2:3] offset:24 glc
	s_waitcnt vmcnt(0)
	buffer_gl1_inv
	buffer_gl0_inv
	s_clause 0x1
	global_load_b64 v[22:23], v7, s[2:3] offset:40
	global_load_b64 v[30:31], v7, s[2:3]
	s_mov_b32 s4, exec_lo
	s_waitcnt vmcnt(1)
	v_and_b32_e32 v6, v23, v25
	v_and_b32_e32 v22, v22, v24
	s_delay_alu instid0(VALU_DEP_2) | instskip(NEXT) | instid1(VALU_DEP_2)
	v_mul_lo_u32 v6, v6, 24
	v_mul_hi_u32 v23, v22, 24
	v_mul_lo_u32 v22, v22, 24
	s_delay_alu instid0(VALU_DEP_2) | instskip(SKIP_1) | instid1(VALU_DEP_2)
	v_add_nc_u32_e32 v6, v23, v6
	s_waitcnt vmcnt(0)
	v_add_co_u32 v22, vcc_lo, v30, v22
	s_delay_alu instid0(VALU_DEP_2)
	v_add_co_ci_u32_e32 v23, vcc_lo, v31, v6, vcc_lo
	global_load_b64 v[22:23], v[22:23], off glc
	s_waitcnt vmcnt(0)
	global_atomic_cmpswap_b64 v[30:31], v7, v[22:25], s[2:3] offset:24 glc
	s_waitcnt vmcnt(0)
	buffer_gl1_inv
	buffer_gl0_inv
	v_cmpx_ne_u64_e64 v[30:31], v[24:25]
	s_cbranch_execz .LBB3_341
; %bb.338:                              ;   in Loop: Header=BB3_280 Depth=1
	s_mov_b32 s5, 0
	.p2align	6
.LBB3_339:                              ;   Parent Loop BB3_280 Depth=1
                                        ; =>  This Inner Loop Header: Depth=2
	s_sleep 1
	s_clause 0x1
	global_load_b64 v[22:23], v7, s[2:3] offset:40
	global_load_b64 v[36:37], v7, s[2:3]
	v_dual_mov_b32 v24, v30 :: v_dual_mov_b32 v25, v31
	s_waitcnt vmcnt(1)
	s_delay_alu instid0(VALU_DEP_1) | instskip(NEXT) | instid1(VALU_DEP_2)
	v_and_b32_e32 v6, v22, v24
	v_and_b32_e32 v33, v23, v25
	s_waitcnt vmcnt(0)
	s_delay_alu instid0(VALU_DEP_2) | instskip(NEXT) | instid1(VALU_DEP_1)
	v_mad_u64_u32 v[30:31], null, v6, 24, v[36:37]
	v_mov_b32_e32 v6, v31
	s_delay_alu instid0(VALU_DEP_1) | instskip(NEXT) | instid1(VALU_DEP_1)
	v_mad_u64_u32 v[22:23], null, v33, 24, v[6:7]
	v_mov_b32_e32 v31, v22
	global_load_b64 v[22:23], v[30:31], off glc
	s_waitcnt vmcnt(0)
	global_atomic_cmpswap_b64 v[30:31], v7, v[22:25], s[2:3] offset:24 glc
	s_waitcnt vmcnt(0)
	buffer_gl1_inv
	buffer_gl0_inv
	v_cmp_eq_u64_e32 vcc_lo, v[30:31], v[24:25]
	s_or_b32 s5, vcc_lo, s5
	s_delay_alu instid0(SALU_CYCLE_1)
	s_and_not1_b32 exec_lo, exec_lo, s5
	s_cbranch_execnz .LBB3_339
; %bb.340:                              ;   in Loop: Header=BB3_280 Depth=1
	s_or_b32 exec_lo, exec_lo, s5
.LBB3_341:                              ;   in Loop: Header=BB3_280 Depth=1
	s_delay_alu instid0(SALU_CYCLE_1)
	s_or_b32 exec_lo, exec_lo, s4
.LBB3_342:                              ;   in Loop: Header=BB3_280 Depth=1
	s_delay_alu instid0(SALU_CYCLE_1)
	s_or_b32 exec_lo, exec_lo, s1
	s_clause 0x1
	global_load_b64 v[36:37], v7, s[2:3] offset:40
	global_load_b128 v[22:25], v7, s[2:3]
	v_readfirstlane_b32 s4, v30
	v_readfirstlane_b32 s5, v31
	s_mov_b32 s1, exec_lo
	s_waitcnt vmcnt(1)
	v_readfirstlane_b32 s6, v36
	v_readfirstlane_b32 s7, v37
	s_delay_alu instid0(VALU_DEP_1) | instskip(NEXT) | instid1(SALU_CYCLE_1)
	s_and_b64 s[6:7], s[4:5], s[6:7]
	s_mul_i32 s13, s7, 24
	s_mul_hi_u32 s14, s6, 24
	s_mul_i32 s15, s6, 24
	s_add_i32 s14, s14, s13
	s_waitcnt vmcnt(0)
	v_add_co_u32 v30, vcc_lo, v22, s15
	v_add_co_ci_u32_e32 v31, vcc_lo, s14, v23, vcc_lo
	s_and_saveexec_b32 s13, s0
	s_cbranch_execz .LBB3_344
; %bb.343:                              ;   in Loop: Header=BB3_280 Depth=1
	v_mov_b32_e32 v6, s1
	global_store_b128 v[30:31], v[6:9], off offset:8
.LBB3_344:                              ;   in Loop: Header=BB3_280 Depth=1
	s_or_b32 exec_lo, exec_lo, s13
	v_cmp_lt_u64_e32 vcc_lo, 56, v[26:27]
	v_or_b32_e32 v6, 0, v1
	v_or_b32_e32 v33, v0, v32
	v_lshl_add_u32 v36, v28, 2, 28
	s_lshl_b64 s[6:7], s[6:7], 12
	s_delay_alu instid0(SALU_CYCLE_1) | instskip(NEXT) | instid1(VALU_DEP_1)
	v_add_co_u32 v24, s1, v24, s6
	v_add_co_ci_u32_e64 v25, s1, s7, v25, s1
	v_dual_cndmask_b32 v1, v6, v1 :: v_dual_cndmask_b32 v0, v33, v0
	v_and_b32_e32 v6, 0x1e0, v36
	s_delay_alu instid0(VALU_DEP_4) | instskip(NEXT) | instid1(VALU_DEP_4)
	v_readfirstlane_b32 s6, v24
	v_readfirstlane_b32 s7, v25
	s_delay_alu instid0(VALU_DEP_3)
	v_and_or_b32 v0, 0xffffff1f, v0, v6
	s_clause 0x3
	global_store_b128 v34, v[0:3], s[6:7]
	global_store_b128 v34, v[10:13], s[6:7] offset:16
	global_store_b128 v34, v[14:17], s[6:7] offset:32
	global_store_b128 v34, v[18:21], s[6:7] offset:48
	s_and_saveexec_b32 s1, s0
	s_cbranch_execz .LBB3_352
; %bb.345:                              ;   in Loop: Header=BB3_280 Depth=1
	s_clause 0x1
	global_load_b64 v[14:15], v7, s[2:3] offset:32 glc
	global_load_b64 v[0:1], v7, s[2:3] offset:40
	v_dual_mov_b32 v12, s4 :: v_dual_mov_b32 v13, s5
	s_waitcnt vmcnt(0)
	v_readfirstlane_b32 s6, v0
	v_readfirstlane_b32 s7, v1
	s_delay_alu instid0(VALU_DEP_1) | instskip(NEXT) | instid1(SALU_CYCLE_1)
	s_and_b64 s[6:7], s[6:7], s[4:5]
	s_mul_i32 s7, s7, 24
	s_mul_hi_u32 s13, s6, 24
	s_mul_i32 s6, s6, 24
	s_add_i32 s13, s13, s7
	v_add_co_u32 v10, vcc_lo, v22, s6
	v_add_co_ci_u32_e32 v11, vcc_lo, s13, v23, vcc_lo
	s_mov_b32 s6, exec_lo
	global_store_b64 v[10:11], v[14:15], off
	s_waitcnt_vscnt null, 0x0
	global_atomic_cmpswap_b64 v[2:3], v7, v[12:15], s[2:3] offset:32 glc
	s_waitcnt vmcnt(0)
	v_cmpx_ne_u64_e64 v[2:3], v[14:15]
	s_cbranch_execz .LBB3_348
; %bb.346:                              ;   in Loop: Header=BB3_280 Depth=1
	s_mov_b32 s7, 0
.LBB3_347:                              ;   Parent Loop BB3_280 Depth=1
                                        ; =>  This Inner Loop Header: Depth=2
	v_dual_mov_b32 v0, s4 :: v_dual_mov_b32 v1, s5
	s_sleep 1
	global_store_b64 v[10:11], v[2:3], off
	s_waitcnt_vscnt null, 0x0
	global_atomic_cmpswap_b64 v[0:1], v7, v[0:3], s[2:3] offset:32 glc
	s_waitcnt vmcnt(0)
	v_cmp_eq_u64_e32 vcc_lo, v[0:1], v[2:3]
	v_dual_mov_b32 v3, v1 :: v_dual_mov_b32 v2, v0
	s_or_b32 s7, vcc_lo, s7
	s_delay_alu instid0(SALU_CYCLE_1)
	s_and_not1_b32 exec_lo, exec_lo, s7
	s_cbranch_execnz .LBB3_347
.LBB3_348:                              ;   in Loop: Header=BB3_280 Depth=1
	s_or_b32 exec_lo, exec_lo, s6
	global_load_b64 v[0:1], v7, s[2:3] offset:16
	s_mov_b32 s7, exec_lo
	s_mov_b32 s6, exec_lo
	v_mbcnt_lo_u32_b32 v2, s7, 0
	s_delay_alu instid0(VALU_DEP_1)
	v_cmpx_eq_u32_e32 0, v2
	s_cbranch_execz .LBB3_350
; %bb.349:                              ;   in Loop: Header=BB3_280 Depth=1
	s_bcnt1_i32_b32 s7, s7
	s_delay_alu instid0(SALU_CYCLE_1)
	v_mov_b32_e32 v6, s7
	s_waitcnt vmcnt(0)
	global_atomic_add_u64 v[0:1], v[6:7], off offset:8
.LBB3_350:                              ;   in Loop: Header=BB3_280 Depth=1
	s_or_b32 exec_lo, exec_lo, s6
	s_waitcnt vmcnt(0)
	global_load_b64 v[2:3], v[0:1], off offset:16
	s_waitcnt vmcnt(0)
	v_cmp_eq_u64_e32 vcc_lo, 0, v[2:3]
	s_cbranch_vccnz .LBB3_352
; %bb.351:                              ;   in Loop: Header=BB3_280 Depth=1
	global_load_b32 v6, v[0:1], off offset:24
	s_waitcnt vmcnt(0)
	v_and_b32_e32 v0, 0xffffff, v6
	s_waitcnt_vscnt null, 0x0
	global_store_b64 v[2:3], v[6:7], off
	v_readfirstlane_b32 m0, v0
	s_sendmsg sendmsg(MSG_INTERRUPT)
.LBB3_352:                              ;   in Loop: Header=BB3_280 Depth=1
	s_or_b32 exec_lo, exec_lo, s1
	v_add_co_u32 v0, vcc_lo, v24, v34
	v_add_co_ci_u32_e32 v1, vcc_lo, 0, v25, vcc_lo
	s_branch .LBB3_356
	.p2align	6
.LBB3_353:                              ;   in Loop: Header=BB3_356 Depth=2
	s_or_b32 exec_lo, exec_lo, s1
	s_delay_alu instid0(VALU_DEP_1) | instskip(NEXT) | instid1(VALU_DEP_1)
	v_readfirstlane_b32 s1, v2
	s_cmp_eq_u32 s1, 0
	s_cbranch_scc1 .LBB3_355
; %bb.354:                              ;   in Loop: Header=BB3_356 Depth=2
	s_sleep 1
	s_cbranch_execnz .LBB3_356
	s_branch .LBB3_358
	.p2align	6
.LBB3_355:                              ;   in Loop: Header=BB3_280 Depth=1
	s_branch .LBB3_358
.LBB3_356:                              ;   Parent Loop BB3_280 Depth=1
                                        ; =>  This Inner Loop Header: Depth=2
	v_mov_b32_e32 v2, 1
	s_and_saveexec_b32 s1, s0
	s_cbranch_execz .LBB3_353
; %bb.357:                              ;   in Loop: Header=BB3_356 Depth=2
	global_load_b32 v2, v[30:31], off offset:20 glc
	s_waitcnt vmcnt(0)
	buffer_gl1_inv
	buffer_gl0_inv
	v_and_b32_e32 v2, 1, v2
	s_branch .LBB3_353
.LBB3_358:                              ;   in Loop: Header=BB3_280 Depth=1
	global_load_b128 v[0:3], v[0:1], off
	s_and_saveexec_b32 s1, s0
	s_cbranch_execz .LBB3_279
; %bb.359:                              ;   in Loop: Header=BB3_280 Depth=1
	s_clause 0x2
	global_load_b64 v[2:3], v7, s[2:3] offset:40
	global_load_b64 v[14:15], v7, s[2:3] offset:24 glc
	global_load_b64 v[12:13], v7, s[2:3]
	s_waitcnt vmcnt(2)
	v_add_co_u32 v6, vcc_lo, v2, 1
	v_add_co_ci_u32_e32 v16, vcc_lo, 0, v3, vcc_lo
	s_delay_alu instid0(VALU_DEP_2) | instskip(NEXT) | instid1(VALU_DEP_2)
	v_add_co_u32 v10, vcc_lo, v6, s4
	v_add_co_ci_u32_e32 v11, vcc_lo, s5, v16, vcc_lo
	s_delay_alu instid0(VALU_DEP_1) | instskip(SKIP_1) | instid1(VALU_DEP_1)
	v_cmp_eq_u64_e32 vcc_lo, 0, v[10:11]
	v_dual_cndmask_b32 v11, v11, v16 :: v_dual_cndmask_b32 v10, v10, v6
	v_and_b32_e32 v3, v11, v3
	s_delay_alu instid0(VALU_DEP_2) | instskip(NEXT) | instid1(VALU_DEP_1)
	v_and_b32_e32 v2, v10, v2
	v_mul_hi_u32 v6, v2, 24
	v_mul_lo_u32 v2, v2, 24
	s_waitcnt vmcnt(0)
	s_delay_alu instid0(VALU_DEP_1) | instskip(SKIP_2) | instid1(VALU_DEP_1)
	v_add_co_u32 v2, vcc_lo, v12, v2
	v_mov_b32_e32 v12, v14
	v_mul_lo_u32 v3, v3, 24
	v_add_nc_u32_e32 v3, v6, v3
	s_delay_alu instid0(VALU_DEP_1)
	v_add_co_ci_u32_e32 v3, vcc_lo, v13, v3, vcc_lo
	v_mov_b32_e32 v13, v15
	global_store_b64 v[2:3], v[14:15], off
	s_waitcnt_vscnt null, 0x0
	global_atomic_cmpswap_b64 v[12:13], v7, v[10:13], s[2:3] offset:24 glc
	s_waitcnt vmcnt(0)
	v_cmp_ne_u64_e32 vcc_lo, v[12:13], v[14:15]
	s_and_b32 exec_lo, exec_lo, vcc_lo
	s_cbranch_execz .LBB3_279
; %bb.360:                              ;   in Loop: Header=BB3_280 Depth=1
	s_mov_b32 s0, 0
.LBB3_361:                              ;   Parent Loop BB3_280 Depth=1
                                        ; =>  This Inner Loop Header: Depth=2
	s_sleep 1
	global_store_b64 v[2:3], v[12:13], off
	s_waitcnt_vscnt null, 0x0
	global_atomic_cmpswap_b64 v[14:15], v7, v[10:13], s[2:3] offset:24 glc
	s_waitcnt vmcnt(0)
	v_cmp_eq_u64_e32 vcc_lo, v[14:15], v[12:13]
	v_dual_mov_b32 v12, v14 :: v_dual_mov_b32 v13, v15
	s_or_b32 s0, vcc_lo, s0
	s_delay_alu instid0(SALU_CYCLE_1)
	s_and_not1_b32 exec_lo, exec_lo, s0
	s_cbranch_execnz .LBB3_361
	s_branch .LBB3_279
.LBB3_362:
	s_or_b32 exec_lo, exec_lo, s11
                                        ; implicit-def: $vgpr34
                                        ; implicit-def: $vgpr35
.LBB3_363:
	s_and_not1_saveexec_b32 s1, s10
	s_cbranch_execz .LBB3_391
; %bb.364:
	v_readfirstlane_b32 s0, v35
	v_mov_b32_e32 v8, 0
	v_mov_b32_e32 v9, 0
	s_delay_alu instid0(VALU_DEP_3) | instskip(NEXT) | instid1(VALU_DEP_1)
	v_cmp_eq_u32_e64 s0, s0, v35
	s_and_saveexec_b32 s4, s0
	s_cbranch_execz .LBB3_370
; %bb.365:
	s_waitcnt vmcnt(0)
	v_mov_b32_e32 v2, 0
	s_mov_b32 s5, exec_lo
	global_load_b64 v[5:6], v2, s[2:3] offset:24 glc
	s_waitcnt vmcnt(0)
	buffer_gl1_inv
	buffer_gl0_inv
	s_clause 0x1
	global_load_b64 v[3:4], v2, s[2:3] offset:40
	global_load_b64 v[7:8], v2, s[2:3]
	s_waitcnt vmcnt(1)
	v_and_b32_e32 v3, v3, v5
	v_and_b32_e32 v4, v4, v6
	s_delay_alu instid0(VALU_DEP_2) | instskip(NEXT) | instid1(VALU_DEP_2)
	v_mul_hi_u32 v9, v3, 24
	v_mul_lo_u32 v4, v4, 24
	v_mul_lo_u32 v3, v3, 24
	s_delay_alu instid0(VALU_DEP_2) | instskip(SKIP_1) | instid1(VALU_DEP_2)
	v_add_nc_u32_e32 v4, v9, v4
	s_waitcnt vmcnt(0)
	v_add_co_u32 v3, vcc_lo, v7, v3
	s_delay_alu instid0(VALU_DEP_2)
	v_add_co_ci_u32_e32 v4, vcc_lo, v8, v4, vcc_lo
	global_load_b64 v[3:4], v[3:4], off glc
	s_waitcnt vmcnt(0)
	global_atomic_cmpswap_b64 v[8:9], v2, v[3:6], s[2:3] offset:24 glc
	s_waitcnt vmcnt(0)
	buffer_gl1_inv
	buffer_gl0_inv
	v_cmpx_ne_u64_e64 v[8:9], v[5:6]
	s_cbranch_execz .LBB3_369
; %bb.366:
	s_mov_b32 s6, 0
	.p2align	6
.LBB3_367:                              ; =>This Inner Loop Header: Depth=1
	s_sleep 1
	s_clause 0x1
	global_load_b64 v[3:4], v2, s[2:3] offset:40
	global_load_b64 v[10:11], v2, s[2:3]
	v_dual_mov_b32 v5, v8 :: v_dual_mov_b32 v6, v9
	s_waitcnt vmcnt(1)
	s_delay_alu instid0(VALU_DEP_1) | instskip(NEXT) | instid1(VALU_DEP_2)
	v_and_b32_e32 v3, v3, v5
	v_and_b32_e32 v4, v4, v6
	s_waitcnt vmcnt(0)
	s_delay_alu instid0(VALU_DEP_2) | instskip(NEXT) | instid1(VALU_DEP_1)
	v_mad_u64_u32 v[7:8], null, v3, 24, v[10:11]
	v_mov_b32_e32 v3, v8
	s_delay_alu instid0(VALU_DEP_1)
	v_mad_u64_u32 v[8:9], null, v4, 24, v[3:4]
	global_load_b64 v[3:4], v[7:8], off glc
	s_waitcnt vmcnt(0)
	global_atomic_cmpswap_b64 v[8:9], v2, v[3:6], s[2:3] offset:24 glc
	s_waitcnt vmcnt(0)
	buffer_gl1_inv
	buffer_gl0_inv
	v_cmp_eq_u64_e32 vcc_lo, v[8:9], v[5:6]
	s_or_b32 s6, vcc_lo, s6
	s_delay_alu instid0(SALU_CYCLE_1)
	s_and_not1_b32 exec_lo, exec_lo, s6
	s_cbranch_execnz .LBB3_367
; %bb.368:
	s_or_b32 exec_lo, exec_lo, s6
.LBB3_369:
	s_delay_alu instid0(SALU_CYCLE_1)
	s_or_b32 exec_lo, exec_lo, s5
.LBB3_370:
	s_delay_alu instid0(SALU_CYCLE_1)
	s_or_b32 exec_lo, exec_lo, s4
	s_waitcnt vmcnt(0)
	v_mov_b32_e32 v2, 0
	v_readfirstlane_b32 s4, v8
	v_readfirstlane_b32 s5, v9
	s_mov_b32 s10, exec_lo
	s_clause 0x1
	global_load_b64 v[10:11], v2, s[2:3] offset:40
	global_load_b128 v[4:7], v2, s[2:3]
	s_waitcnt vmcnt(1)
	v_readfirstlane_b32 s6, v10
	v_readfirstlane_b32 s7, v11
	s_delay_alu instid0(VALU_DEP_1) | instskip(NEXT) | instid1(SALU_CYCLE_1)
	s_and_b64 s[6:7], s[4:5], s[6:7]
	s_mul_i32 s11, s7, 24
	s_mul_hi_u32 s12, s6, 24
	s_mul_i32 s13, s6, 24
	s_add_i32 s12, s12, s11
	s_waitcnt vmcnt(0)
	v_add_co_u32 v8, vcc_lo, v4, s13
	v_add_co_ci_u32_e32 v9, vcc_lo, s12, v5, vcc_lo
	s_and_saveexec_b32 s11, s0
	s_cbranch_execz .LBB3_372
; %bb.371:
	v_dual_mov_b32 v10, s10 :: v_dual_mov_b32 v11, v2
	v_dual_mov_b32 v12, 2 :: v_dual_mov_b32 v13, 1
	global_store_b128 v[8:9], v[10:13], off offset:8
.LBB3_372:
	s_or_b32 exec_lo, exec_lo, s11
	s_lshl_b64 s[6:7], s[6:7], 12
	s_mov_b32 s12, 0
	v_add_co_u32 v6, vcc_lo, v6, s6
	v_add_co_ci_u32_e32 v7, vcc_lo, s7, v7, vcc_lo
	s_mov_b32 s13, s12
	s_delay_alu instid0(VALU_DEP_2)
	v_readfirstlane_b32 s6, v6
	v_add_co_u32 v6, vcc_lo, v6, v34
	s_mov_b32 s14, s12
	s_mov_b32 s15, s12
	v_and_or_b32 v0, 0xffffff1f, v0, 32
	v_dual_mov_b32 v3, v2 :: v_dual_mov_b32 v10, s12
	v_readfirstlane_b32 s7, v7
	v_add_co_ci_u32_e32 v7, vcc_lo, 0, v7, vcc_lo
	v_dual_mov_b32 v11, s13 :: v_dual_mov_b32 v12, s14
	v_mov_b32_e32 v13, s15
	s_clause 0x3
	global_store_b128 v34, v[0:3], s[6:7]
	global_store_b128 v34, v[10:13], s[6:7] offset:16
	global_store_b128 v34, v[10:13], s[6:7] offset:32
	;; [unrolled: 1-line block ×3, first 2 shown]
	s_and_saveexec_b32 s6, s0
	s_cbranch_execz .LBB3_380
; %bb.373:
	v_dual_mov_b32 v10, 0 :: v_dual_mov_b32 v11, s4
	v_mov_b32_e32 v12, s5
	s_clause 0x1
	global_load_b64 v[13:14], v10, s[2:3] offset:32 glc
	global_load_b64 v[0:1], v10, s[2:3] offset:40
	s_waitcnt vmcnt(0)
	v_readfirstlane_b32 s10, v0
	v_readfirstlane_b32 s11, v1
	s_delay_alu instid0(VALU_DEP_1) | instskip(NEXT) | instid1(SALU_CYCLE_1)
	s_and_b64 s[10:11], s[10:11], s[4:5]
	s_mul_i32 s7, s11, 24
	s_mul_hi_u32 s11, s10, 24
	s_mul_i32 s10, s10, 24
	s_add_i32 s11, s11, s7
	v_add_co_u32 v4, vcc_lo, v4, s10
	v_add_co_ci_u32_e32 v5, vcc_lo, s11, v5, vcc_lo
	s_mov_b32 s7, exec_lo
	global_store_b64 v[4:5], v[13:14], off
	s_waitcnt_vscnt null, 0x0
	global_atomic_cmpswap_b64 v[2:3], v10, v[11:14], s[2:3] offset:32 glc
	s_waitcnt vmcnt(0)
	v_cmpx_ne_u64_e64 v[2:3], v[13:14]
	s_cbranch_execz .LBB3_376
; %bb.374:
	s_mov_b32 s10, 0
.LBB3_375:                              ; =>This Inner Loop Header: Depth=1
	v_dual_mov_b32 v0, s4 :: v_dual_mov_b32 v1, s5
	s_sleep 1
	global_store_b64 v[4:5], v[2:3], off
	s_waitcnt_vscnt null, 0x0
	global_atomic_cmpswap_b64 v[0:1], v10, v[0:3], s[2:3] offset:32 glc
	s_waitcnt vmcnt(0)
	v_cmp_eq_u64_e32 vcc_lo, v[0:1], v[2:3]
	v_dual_mov_b32 v3, v1 :: v_dual_mov_b32 v2, v0
	s_or_b32 s10, vcc_lo, s10
	s_delay_alu instid0(SALU_CYCLE_1)
	s_and_not1_b32 exec_lo, exec_lo, s10
	s_cbranch_execnz .LBB3_375
.LBB3_376:
	s_or_b32 exec_lo, exec_lo, s7
	v_mov_b32_e32 v3, 0
	s_mov_b32 s10, exec_lo
	s_mov_b32 s7, exec_lo
	v_mbcnt_lo_u32_b32 v2, s10, 0
	global_load_b64 v[0:1], v3, s[2:3] offset:16
	v_cmpx_eq_u32_e32 0, v2
	s_cbranch_execz .LBB3_378
; %bb.377:
	s_bcnt1_i32_b32 s10, s10
	s_delay_alu instid0(SALU_CYCLE_1)
	v_mov_b32_e32 v2, s10
	s_waitcnt vmcnt(0)
	global_atomic_add_u64 v[0:1], v[2:3], off offset:8
.LBB3_378:
	s_or_b32 exec_lo, exec_lo, s7
	s_waitcnt vmcnt(0)
	global_load_b64 v[2:3], v[0:1], off offset:16
	s_waitcnt vmcnt(0)
	v_cmp_eq_u64_e32 vcc_lo, 0, v[2:3]
	s_cbranch_vccnz .LBB3_380
; %bb.379:
	global_load_b32 v0, v[0:1], off offset:24
	s_waitcnt vmcnt(0)
	v_dual_mov_b32 v1, 0 :: v_dual_and_b32 v4, 0xffffff, v0
	s_waitcnt_vscnt null, 0x0
	global_store_b64 v[2:3], v[0:1], off
	v_readfirstlane_b32 m0, v4
	s_sendmsg sendmsg(MSG_INTERRUPT)
.LBB3_380:
	s_or_b32 exec_lo, exec_lo, s6
	s_branch .LBB3_384
	.p2align	6
.LBB3_381:                              ;   in Loop: Header=BB3_384 Depth=1
	s_or_b32 exec_lo, exec_lo, s6
	s_delay_alu instid0(VALU_DEP_1) | instskip(NEXT) | instid1(VALU_DEP_1)
	v_readfirstlane_b32 s6, v0
	s_cmp_eq_u32 s6, 0
	s_cbranch_scc1 .LBB3_383
; %bb.382:                              ;   in Loop: Header=BB3_384 Depth=1
	s_sleep 1
	s_cbranch_execnz .LBB3_384
	s_branch .LBB3_386
	.p2align	6
.LBB3_383:
	s_branch .LBB3_386
.LBB3_384:                              ; =>This Inner Loop Header: Depth=1
	v_mov_b32_e32 v0, 1
	s_and_saveexec_b32 s6, s0
	s_cbranch_execz .LBB3_381
; %bb.385:                              ;   in Loop: Header=BB3_384 Depth=1
	global_load_b32 v0, v[8:9], off offset:20 glc
	s_waitcnt vmcnt(0)
	buffer_gl1_inv
	buffer_gl0_inv
	v_and_b32_e32 v0, 1, v0
	s_branch .LBB3_381
.LBB3_386:
	global_load_b64 v[0:1], v[6:7], off
	s_and_saveexec_b32 s6, s0
	s_cbranch_execz .LBB3_390
; %bb.387:
	v_mov_b32_e32 v8, 0
	s_clause 0x2
	global_load_b64 v[4:5], v8, s[2:3] offset:40
	global_load_b64 v[9:10], v8, s[2:3] offset:24 glc
	global_load_b64 v[6:7], v8, s[2:3]
	s_waitcnt vmcnt(2)
	v_add_co_u32 v11, vcc_lo, v4, 1
	v_add_co_ci_u32_e32 v12, vcc_lo, 0, v5, vcc_lo
	s_delay_alu instid0(VALU_DEP_2) | instskip(NEXT) | instid1(VALU_DEP_2)
	v_add_co_u32 v2, vcc_lo, v11, s4
	v_add_co_ci_u32_e32 v3, vcc_lo, s5, v12, vcc_lo
	s_delay_alu instid0(VALU_DEP_1) | instskip(SKIP_1) | instid1(VALU_DEP_1)
	v_cmp_eq_u64_e32 vcc_lo, 0, v[2:3]
	v_dual_cndmask_b32 v3, v3, v12 :: v_dual_cndmask_b32 v2, v2, v11
	v_and_b32_e32 v5, v3, v5
	s_delay_alu instid0(VALU_DEP_2) | instskip(NEXT) | instid1(VALU_DEP_2)
	v_and_b32_e32 v4, v2, v4
	v_mul_lo_u32 v5, v5, 24
	s_delay_alu instid0(VALU_DEP_2) | instskip(SKIP_1) | instid1(VALU_DEP_2)
	v_mul_hi_u32 v11, v4, 24
	v_mul_lo_u32 v4, v4, 24
	v_add_nc_u32_e32 v5, v11, v5
	s_waitcnt vmcnt(0)
	s_delay_alu instid0(VALU_DEP_2) | instskip(SKIP_1) | instid1(VALU_DEP_3)
	v_add_co_u32 v6, vcc_lo, v6, v4
	v_mov_b32_e32 v4, v9
	v_add_co_ci_u32_e32 v7, vcc_lo, v7, v5, vcc_lo
	v_mov_b32_e32 v5, v10
	global_store_b64 v[6:7], v[9:10], off
	s_waitcnt_vscnt null, 0x0
	global_atomic_cmpswap_b64 v[4:5], v8, v[2:5], s[2:3] offset:24 glc
	s_waitcnt vmcnt(0)
	v_cmp_ne_u64_e32 vcc_lo, v[4:5], v[9:10]
	s_and_b32 exec_lo, exec_lo, vcc_lo
	s_cbranch_execz .LBB3_390
; %bb.388:
	s_mov_b32 s0, 0
.LBB3_389:                              ; =>This Inner Loop Header: Depth=1
	s_sleep 1
	global_store_b64 v[6:7], v[4:5], off
	s_waitcnt_vscnt null, 0x0
	global_atomic_cmpswap_b64 v[9:10], v8, v[2:5], s[2:3] offset:24 glc
	s_waitcnt vmcnt(0)
	v_cmp_eq_u64_e32 vcc_lo, v[9:10], v[4:5]
	v_dual_mov_b32 v4, v9 :: v_dual_mov_b32 v5, v10
	s_or_b32 s0, vcc_lo, s0
	s_delay_alu instid0(SALU_CYCLE_1)
	s_and_not1_b32 exec_lo, exec_lo, s0
	s_cbranch_execnz .LBB3_389
.LBB3_390:
	s_or_b32 exec_lo, exec_lo, s6
.LBB3_391:
	s_delay_alu instid0(SALU_CYCLE_1)
	s_or_b32 exec_lo, exec_lo, s1
	s_getpc_b64 s[0:1]
	s_add_u32 s0, s0, .str.2@rel32@lo+4
	s_addc_u32 s1, s1, .str.2@rel32@hi+12
	s_getpc_b64 s[2:3]
	s_add_u32 s2, s2, .str.2@rel32@lo+32
	s_addc_u32 s3, s3, .str.2@rel32@hi+40
	s_sub_i32 s4, s2, s0
	s_getpc_b64 s[2:3]
	s_add_u32 s2, s2, __ockl_fprintf_append_string_n@rel32@lo+4
	s_addc_u32 s3, s3, __ockl_fprintf_append_string_n@rel32@hi+12
	s_ashr_i32 s5, s4, 31
	s_waitcnt vmcnt(0)
	v_dual_mov_b32 v2, s0 :: v_dual_mov_b32 v3, s1
	v_dual_mov_b32 v4, s4 :: v_dual_mov_b32 v5, s5
	v_mov_b32_e32 v6, 1
	s_swappc_b64 s[30:31], s[2:3]
	s_trap 2
	s_sendmsg_rtn_b32 s0, sendmsg(MSG_RTN_GET_DOORBELL)
	s_mov_b32 ttmp2, m0
	s_waitcnt lgkmcnt(0)
	s_and_b32 s0, s0, 0x3ff
	s_delay_alu instid0(SALU_CYCLE_1) | instskip(NEXT) | instid1(SALU_CYCLE_1)
	s_bitset1_b32 s0, 10
	s_mov_b32 m0, s0
	s_sendmsg sendmsg(MSG_INTERRUPT)
	s_mov_b32 m0, ttmp2
.LBB3_392:                              ; =>This Inner Loop Header: Depth=1
	s_sethalt 5
	s_branch .LBB3_392
.Lfunc_end3:
	.size	__assert_fail, .Lfunc_end3-__assert_fail
                                        ; -- End function
	.section	.AMDGPU.csdata,"",@progbits
; Function info:
; codeLenInByte = 16148
; NumSgprs: 36
; NumVgprs: 41
; ScratchSize: 64
; MemoryBound: 0
	.text
	.p2align	2                               ; -- Begin function _ZN12_GLOBAL__N_17runRingIa7FuncSumIaE11ProtoSimpleILi1ELi1ELi0ELi1ELi0ELi0EELi0ELi1ELi0EEEviiP15ncclDevWorkColl
	.type	_ZN12_GLOBAL__N_17runRingIa7FuncSumIaE11ProtoSimpleILi1ELi1ELi0ELi1ELi0ELi0EELi0ELi1ELi0EEEviiP15ncclDevWorkColl,@function
_ZN12_GLOBAL__N_17runRingIa7FuncSumIaE11ProtoSimpleILi1ELi1ELi0ELi1ELi0ELi0EELi0ELi1ELi0EEEviiP15ncclDevWorkColl: ; @_ZN12_GLOBAL__N_17runRingIa7FuncSumIaE11ProtoSimpleILi1ELi1ELi0ELi1ELi0ELi0EELi0ELi1ELi0EEEviiP15ncclDevWorkColl
; %bb.0:
	s_waitcnt vmcnt(0) expcnt(0) lgkmcnt(0)
	s_mov_b32 s0, s33
	s_mov_b32 s33, s32
	s_or_saveexec_b32 s1, -1
	s_clause 0x1
	scratch_store_b32 off, v41, s33 offset:4
	; meta instruction
	scratch_store_b32 off, v42, s33 offset:8
	s_mov_b32 exec_lo, s1
	v_writelane_b32 v41, s0, 9
	s_add_i32 s32, s32, 16
	scratch_store_b32 off, v40, s33         ; 4-byte Folded Spill
	v_writelane_b32 v41, s34, 0
	v_writelane_b32 v41, s35, 1
	;; [unrolled: 1-line block ×9, first 2 shown]
	s_cbranch_execnz .LBB4_15
; %bb.1:
	ds_load_b64 v[4:5], v0
	s_clause 0x1
	flat_load_b64 v[16:17], v[2:3]
	flat_load_u16 v9, v[2:3] offset:8
	ds_load_b32 v6, v0
	s_mov_b32 s0, exec_lo
                                        ; implicit-def: $vgpr34_vgpr35
                                        ; implicit-def: $vgpr14_vgpr15
	s_waitcnt lgkmcnt(3)
	flat_load_b64 v[32:33], v[4:5]
                                        ; implicit-def: $vgpr4_vgpr5
	s_waitcnt vmcnt(2) lgkmcnt(3)
	v_dual_mov_b32 v8, v17 :: v_dual_and_b32 v7, 0xff, v16
	s_waitcnt lgkmcnt(1)
	s_delay_alu instid0(VALU_DEP_1)
	v_cmpx_ne_u32_e64 v7, v6
	s_xor_b32 s0, exec_lo, s0
	s_cbranch_execz .LBB4_7
; %bb.2:
	v_bfe_u32 v11, v16, 8, 8
	v_not_b32_e32 v10, v7
	s_mov_b32 s1, exec_lo
                                        ; implicit-def: $vgpr34_vgpr35
                                        ; implicit-def: $vgpr4_vgpr5
                                        ; implicit-def: $vgpr14_vgpr15
	s_delay_alu instid0(VALU_DEP_2)
	v_cmpx_ne_u32_e64 v11, v6
	s_xor_b32 s1, exec_lo, s1
	s_cbranch_execz .LBB4_4
; %bb.3:
	s_clause 0x1
	flat_load_b128 v[17:20], v[2:3] offset:72
	flat_load_b64 v[4:5], v[2:3] offset:96
	v_add_nc_u32_e32 v6, v6, v10
                                        ; implicit-def: $vgpr11
                                        ; implicit-def: $vgpr10
	s_waitcnt vmcnt(0) lgkmcnt(0)
	v_lshrrev_b64 v[34:35], 21, v[4:5]
	v_dual_mov_b32 v4, v19 :: v_dual_mov_b32 v5, v20
	s_delay_alu instid0(VALU_DEP_3) | instskip(SKIP_2) | instid1(VALU_DEP_3)
	v_ashrrev_i32_e32 v7, 31, v6
	v_mad_u64_u32 v[14:15], null, v19, v6, v[17:18]
	v_mul_lo_u32 v6, v20, v6
	v_mul_lo_u32 v7, v19, v7
	s_delay_alu instid0(VALU_DEP_1)
	v_add3_u32 v15, v6, v15, v7
.LBB4_4:
	s_and_not1_saveexec_b32 s1, s1
	s_cbranch_execz .LBB4_6
; %bb.5:
	s_clause 0x1
	flat_load_b128 v[17:20], v[2:3] offset:72
	flat_load_b128 v[4:7], v[2:3] offset:88
	s_waitcnt vmcnt(0) lgkmcnt(0)
	v_add_nc_u32_e32 v6, v11, v10
	s_delay_alu instid0(VALU_DEP_1) | instskip(NEXT) | instid1(VALU_DEP_1)
	v_ashrrev_i32_e32 v10, 31, v6
	v_mul_lo_u32 v10, v19, v10
	v_mad_u64_u32 v[14:15], null, v19, v6, v[17:18]
	v_mul_lo_u32 v6, v20, v6
	v_lshrrev_b32_e32 v34, 10, v7
	s_delay_alu instid0(VALU_DEP_2)
	v_add3_u32 v15, v6, v15, v10
.LBB4_6:
	s_or_b32 exec_lo, exec_lo, s1
.LBB4_7:
	s_and_not1_saveexec_b32 s0, s0
; %bb.8:
	s_clause 0x1
	flat_load_b64 v[4:5], v[2:3] offset:72
	flat_load_b64 v[34:35], v[2:3] offset:96
	v_mov_b32_e32 v14, 0
	v_mov_b32_e32 v15, 0
; %bb.9:
	s_or_b32 exec_lo, exec_lo, s0
	flat_load_b128 v[10:13], v[2:3] offset:16
	v_and_b32_e32 v6, 0x44000000, v16
	v_bfe_u32 v37, v8, 1, 30
	s_mov_b32 s0, exec_lo
	s_delay_alu instid0(VALU_DEP_2) | instskip(NEXT) | instid1(VALU_DEP_1)
	v_cmp_eq_u32_e64 s14, 0x44000000, v6
	v_cndmask_b32_e64 v30, v1, 32, s14
	s_delay_alu instid0(VALU_DEP_1)
	v_cmpx_ge_i32_e64 v0, v30
	s_xor_b32 s1, exec_lo, s0
	s_cbranch_execz .LBB4_43
; %bb.10:
	s_waitcnt vmcnt(0) lgkmcnt(0)
	v_cmp_ne_u64_e32 vcc_lo, v[12:13], v[10:11]
	v_cmp_eq_u32_e64 s0, v32, v37
	s_delay_alu instid0(VALU_DEP_1) | instskip(NEXT) | instid1(SALU_CYCLE_1)
	s_and_b32 s0, vcc_lo, s0
	s_and_saveexec_b32 s2, s0
	s_cbranch_execz .LBB4_42
; %bb.11:
	v_sub_nc_u32_e32 v8, v0, v30
	s_mov_b32 s0, exec_lo
	s_delay_alu instid0(VALU_DEP_1) | instskip(NEXT) | instid1(VALU_DEP_1)
	v_ashrrev_i32_e32 v0, 31, v8
	v_lshrrev_b32_e32 v0, 27, v0
	s_delay_alu instid0(VALU_DEP_1) | instskip(NEXT) | instid1(VALU_DEP_1)
	v_add_nc_u32_e32 v0, v8, v0
	v_and_b32_e32 v2, 0xffffffe0, v0
	s_delay_alu instid0(VALU_DEP_1) | instskip(SKIP_1) | instid1(VALU_DEP_2)
	v_sub_nc_u32_e32 v19, v8, v2
	v_mov_b32_e32 v2, 0
	v_cmpx_gt_i32_e32 1, v19
; %bb.12:
	v_add_nc_u32_e32 v2, v12, v14
	v_add_nc_u32_e32 v3, v10, v14
	s_delay_alu instid0(VALU_DEP_1) | instskip(NEXT) | instid1(VALU_DEP_1)
	v_or_b32_e32 v2, v2, v3
	v_and_b32_e32 v2, 15, v2
	s_delay_alu instid0(VALU_DEP_1)
	v_cmp_ne_u32_e32 vcc_lo, 0, v2
	v_cndmask_b32_e64 v2, 0, 1, vcc_lo
; %bb.13:
	s_or_b32 exec_lo, exec_lo, s0
	;;#ASMSTART
	;;#ASMEND
	s_delay_alu instid0(VALU_DEP_1)
	v_cmp_ne_u32_e32 vcc_lo, 0, v2
	v_ashrrev_i32_e32 v9, 5, v0
	v_sub_nc_u32_e32 v18, v1, v30
	s_cbranch_vccz .LBB4_17
; %bb.14:
	v_mov_b32_e32 v0, 0
	v_mov_b32_e32 v1, 0
	s_mov_b32 s0, -1
	s_delay_alu instid0(SALU_CYCLE_1)
	s_and_b32 exec_lo, exec_lo, s0
	s_cbranch_execnz .LBB4_34
	s_branch .LBB4_42
.LBB4_15:
	s_trap 2
	s_sendmsg_rtn_b32 s0, sendmsg(MSG_RTN_GET_DOORBELL)
	s_mov_b32 ttmp2, m0
	s_waitcnt lgkmcnt(0)
	s_and_b32 s0, s0, 0x3ff
	s_delay_alu instid0(SALU_CYCLE_1) | instskip(NEXT) | instid1(SALU_CYCLE_1)
	s_bitset1_b32 s0, 10
	s_mov_b32 m0, s0
	s_sendmsg sendmsg(MSG_INTERRUPT)
	s_mov_b32 m0, ttmp2
.LBB4_16:                               ; =>This Inner Loop Header: Depth=1
	s_sethalt 5
	s_branch .LBB4_16
.LBB4_17:
	v_ashrrev_i32_e32 v0, 31, v5
	s_delay_alu instid0(VALU_DEP_3) | instskip(SKIP_1) | instid1(VALU_DEP_2)
	v_ashrrev_i32_e32 v2, 31, v9
	s_mov_b32 s3, exec_lo
	v_lshrrev_b32_e32 v0, 22, v0
	s_delay_alu instid0(VALU_DEP_1) | instskip(SKIP_1) | instid1(VALU_DEP_1)
	v_add_co_u32 v0, vcc_lo, v4, v0
	v_add_co_ci_u32_e32 v1, vcc_lo, 0, v5, vcc_lo
	v_ashrrev_i64 v[0:1], 10, v[0:1]
	s_delay_alu instid0(VALU_DEP_1) | instskip(NEXT) | instid1(VALU_DEP_2)
	v_sub_co_u32 v7, vcc_lo, v0, v9
	v_sub_co_ci_u32_e32 v8, vcc_lo, v1, v2, vcc_lo
	s_delay_alu instid0(VALU_DEP_1)
	v_cmpx_lt_i64_e32 0, v[7:8]
	s_cbranch_execz .LBB4_21
; %bb.18:
	v_ashrrev_i32_e32 v2, 31, v18
	v_lshlrev_b32_e32 v3, 4, v19
	s_mov_b32 s4, 0
	s_delay_alu instid0(VALU_DEP_2) | instskip(NEXT) | instid1(VALU_DEP_2)
	v_lshrrev_b32_e32 v2, 27, v2
	v_lshl_add_u32 v16, v9, 10, v3
	s_delay_alu instid0(VALU_DEP_2) | instskip(NEXT) | instid1(VALU_DEP_2)
	v_add_nc_u32_e32 v2, v18, v2
	v_ashrrev_i32_e32 v17, 31, v16
	s_delay_alu instid0(VALU_DEP_2) | instskip(NEXT) | instid1(VALU_DEP_1)
	v_ashrrev_i32_e32 v2, 5, v2
	v_lshl_add_u32 v6, v2, 10, 0xfffffc00
	v_ashrrev_i32_e32 v3, 31, v2
	s_delay_alu instid0(VALU_DEP_2) | instskip(SKIP_1) | instid1(VALU_DEP_2)
	v_ashrrev_i32_e32 v9, 31, v6
	v_add_co_u32 v6, vcc_lo, 0x400, v6
	v_add_co_ci_u32_e32 v9, vcc_lo, 0, v9, vcc_lo
	v_add_co_u32 v16, vcc_lo, v14, v16
	v_add_co_ci_u32_e32 v17, vcc_lo, v15, v17, vcc_lo
	.p2align	6
.LBB4_19:                               ; =>This Inner Loop Header: Depth=1
	s_delay_alu instid0(VALU_DEP_2) | instskip(NEXT) | instid1(VALU_DEP_2)
	v_add_co_u32 v24, vcc_lo, v12, v16
	v_add_co_ci_u32_e32 v25, vcc_lo, v13, v17, vcc_lo
	v_sub_co_u32 v7, vcc_lo, v7, v2
	v_sub_co_ci_u32_e32 v8, vcc_lo, v8, v3, vcc_lo
	s_clause 0x1
	global_load_b128 v[20:23], v[24:25], off slc dlc
	global_load_b128 v[24:27], v[24:25], off offset:512 slc dlc
	v_add_co_u32 v28, vcc_lo, v10, v16
	v_add_co_ci_u32_e32 v29, vcc_lo, v11, v17, vcc_lo
	v_cmp_gt_i64_e32 vcc_lo, 1, v[7:8]
	v_add_co_u32 v16, s0, v16, v6
	s_delay_alu instid0(VALU_DEP_1)
	v_add_co_ci_u32_e64 v17, s0, v17, v9, s0
	s_waitcnt vmcnt(1)
	global_store_b128 v[28:29], v[20:23], off glc slc dlc
	s_waitcnt vmcnt(0)
	global_store_b128 v[28:29], v[24:27], off offset:512 glc slc dlc
	s_or_b32 s4, vcc_lo, s4
	s_delay_alu instid0(SALU_CYCLE_1)
	s_and_not1_b32 exec_lo, exec_lo, s4
	s_cbranch_execnz .LBB4_19
; %bb.20:
	s_or_b32 exec_lo, exec_lo, s4
.LBB4_21:
	s_delay_alu instid0(SALU_CYCLE_1)
	s_or_b32 exec_lo, exec_lo, s3
	v_lshlrev_b64 v[16:17], 10, v[0:1]
	v_mov_b32_e32 v0, 0
	v_mov_b32_e32 v1, 0
	s_mov_b32 s0, 0
	s_mov_b32 s3, exec_lo
                                        ; implicit-def: $vgpr8
                                        ; implicit-def: $vgpr9
	s_delay_alu instid0(VALU_DEP_3)
	v_cmpx_ne_u64_e64 v[4:5], v[16:17]
	s_cbranch_execz .LBB4_33
; %bb.22:
	v_sub_co_u32 v20, vcc_lo, v4, v16
	v_sub_co_ci_u32_e32 v21, vcc_lo, v5, v17, vcc_lo
	v_mov_b32_e32 v1, 0
	s_delay_alu instid0(VALU_DEP_2) | instskip(NEXT) | instid1(VALU_DEP_1)
	v_ashrrev_i32_e32 v0, 31, v21
	v_lshrrev_b32_e32 v0, 23, v0
	s_delay_alu instid0(VALU_DEP_1) | instskip(SKIP_1) | instid1(VALU_DEP_2)
	v_add_co_u32 v5, vcc_lo, v20, v0
	v_add_co_ci_u32_e32 v6, vcc_lo, 0, v21, vcc_lo
	v_and_b32_e32 v0, 0xfffffe00, v5
	s_delay_alu instid0(VALU_DEP_2) | instskip(NEXT) | instid1(VALU_DEP_2)
	v_ashrrev_i64 v[8:9], 9, v[5:6]
	v_sub_co_u32 v2, vcc_lo, v20, v0
	v_add_co_u32 v5, s0, v0, v16
	v_sub_co_ci_u32_e32 v3, vcc_lo, v21, v6, vcc_lo
	v_add_co_ci_u32_e64 v6, s0, v6, v17, s0
	s_mov_b32 s0, exec_lo
	s_delay_alu instid0(VALU_DEP_2)
	v_cmpx_lt_i64_e32 15, v[2:3]
; %bb.23:
	v_and_b32_e32 v0, 15, v4
	s_delay_alu instid0(VALU_DEP_1) | instskip(SKIP_3) | instid1(VALU_DEP_4)
	v_sub_co_u32 v2, vcc_lo, v2, v0
	v_subrev_co_ci_u32_e32 v3, vcc_lo, 0, v3, vcc_lo
	v_add_co_u32 v8, vcc_lo, v8, 1
	v_add_co_ci_u32_e32 v9, vcc_lo, 0, v9, vcc_lo
	v_add_co_u32 v5, vcc_lo, v2, v5
	s_delay_alu instid0(VALU_DEP_4)
	v_add_co_ci_u32_e32 v6, vcc_lo, v3, v6, vcc_lo
	v_dual_mov_b32 v3, v1 :: v_dual_mov_b32 v2, v0
; %bb.24:
	s_or_b32 exec_lo, exec_lo, s0
	v_lshlrev_b32_e32 v0, 5, v7
	s_mov_b32 s4, exec_lo
	s_delay_alu instid0(VALU_DEP_1) | instskip(NEXT) | instid1(VALU_DEP_1)
	v_sub_nc_u32_e32 v0, v19, v0
	v_ashrrev_i32_e32 v1, 31, v0
	s_delay_alu instid0(VALU_DEP_1) | instskip(NEXT) | instid1(VALU_DEP_1)
	v_lshrrev_b32_e32 v1, 27, v1
	v_add_nc_u32_e32 v1, v0, v1
	s_delay_alu instid0(VALU_DEP_1) | instskip(SKIP_1) | instid1(VALU_DEP_2)
	v_and_b32_e32 v4, 0xffffffe0, v1
	v_ashrrev_i32_e32 v7, 5, v1
	v_sub_nc_u32_e32 v4, v0, v4
	s_delay_alu instid0(VALU_DEP_2) | instskip(NEXT) | instid1(VALU_DEP_2)
	v_ashrrev_i32_e32 v19, 31, v7
	v_lshlrev_b32_e32 v0, 4, v4
	s_delay_alu instid0(VALU_DEP_1) | instskip(SKIP_1) | instid1(VALU_DEP_1)
	v_lshl_add_u32 v22, v7, 9, v0
	v_sub_co_u32 v7, s0, v8, v7
	v_sub_co_ci_u32_e64 v8, s0, v9, v19, s0
	s_delay_alu instid0(VALU_DEP_3) | instskip(SKIP_1) | instid1(VALU_DEP_2)
	v_ashrrev_i32_e32 v23, 31, v22
	v_sub_co_u32 v0, vcc_lo, v20, v22
	v_sub_co_ci_u32_e32 v1, vcc_lo, v21, v23, vcc_lo
	s_delay_alu instid0(VALU_DEP_1)
	v_cmpx_lt_i64_e32 15, v[0:1]
	s_cbranch_execz .LBB4_28
; %bb.25:
	v_ashrrev_i32_e32 v9, 31, v18
	v_add_co_u32 v24, vcc_lo, v14, v16
	v_add_co_ci_u32_e32 v25, vcc_lo, v15, v17, vcc_lo
	s_delay_alu instid0(VALU_DEP_3) | instskip(SKIP_1) | instid1(VALU_DEP_1)
	v_lshrrev_b32_e32 v9, 27, v9
	s_mov_b32 s5, 0
	v_add_nc_u32_e32 v9, v18, v9
	s_delay_alu instid0(VALU_DEP_1) | instskip(NEXT) | instid1(VALU_DEP_1)
	v_ashrrev_i32_e32 v9, 5, v9
	v_lshlrev_b32_e32 v19, 9, v9
	v_ashrrev_i32_e32 v16, 31, v9
	s_delay_alu instid0(VALU_DEP_2) | instskip(SKIP_1) | instid1(VALU_DEP_2)
	v_add_nc_u32_e32 v20, 0xfffffe00, v19
	v_ashrrev_i32_e32 v17, 31, v19
	v_ashrrev_i32_e32 v21, 31, v20
	v_add_co_u32 v20, vcc_lo, 0x200, v20
	s_delay_alu instid0(VALU_DEP_2)
	v_add_co_ci_u32_e32 v21, vcc_lo, 0, v21, vcc_lo
	v_add_co_u32 v22, vcc_lo, v24, v22
	v_add_co_ci_u32_e32 v23, vcc_lo, v25, v23, vcc_lo
	.p2align	6
.LBB4_26:                               ; =>This Inner Loop Header: Depth=1
	s_delay_alu instid0(VALU_DEP_2) | instskip(NEXT) | instid1(VALU_DEP_2)
	v_add_co_u32 v24, vcc_lo, v12, v22
	v_add_co_ci_u32_e32 v25, vcc_lo, v13, v23, vcc_lo
	v_add_co_u32 v28, vcc_lo, v10, v22
	v_add_co_ci_u32_e32 v29, vcc_lo, v11, v23, vcc_lo
	global_load_b128 v[24:27], v[24:25], off slc dlc
	v_sub_co_u32 v0, vcc_lo, v0, v19
	v_sub_co_ci_u32_e32 v1, vcc_lo, v1, v17, vcc_lo
	v_sub_co_u32 v7, vcc_lo, v7, v9
	v_sub_co_ci_u32_e32 v8, vcc_lo, v8, v16, vcc_lo
	s_delay_alu instid0(VALU_DEP_3) | instskip(SKIP_1) | instid1(VALU_DEP_1)
	v_cmp_gt_i64_e32 vcc_lo, 16, v[0:1]
	v_add_co_u32 v22, s0, v22, v20
	v_add_co_ci_u32_e64 v23, s0, v23, v21, s0
	s_or_b32 s5, vcc_lo, s5
	s_waitcnt vmcnt(0)
	global_store_b128 v[28:29], v[24:27], off glc slc dlc
	s_and_not1_b32 exec_lo, exec_lo, s5
	s_cbranch_execnz .LBB4_26
; %bb.27:
	s_or_b32 exec_lo, exec_lo, s5
.LBB4_28:
	s_delay_alu instid0(SALU_CYCLE_1) | instskip(NEXT) | instid1(SALU_CYCLE_1)
	s_or_b32 exec_lo, exec_lo, s4
	s_mov_b32 s0, exec_lo
	v_cmpx_lt_i64_e32 0, v[7:8]
; %bb.29:
	v_ashrrev_i32_e32 v0, 31, v18
	s_delay_alu instid0(VALU_DEP_1) | instskip(NEXT) | instid1(VALU_DEP_1)
	v_lshrrev_b32_e32 v0, 27, v0
	v_add_nc_u32_e32 v0, v18, v0
	s_delay_alu instid0(VALU_DEP_1) | instskip(NEXT) | instid1(VALU_DEP_1)
	v_ashrrev_i32_e32 v0, 5, v0
	v_sub_co_u32 v7, vcc_lo, v7, v0
; %bb.30:
	s_or_b32 exec_lo, exec_lo, s0
	v_mov_b32_e32 v0, 0
	v_mov_b32_e32 v1, 0
	s_mov_b32 s0, 0
	s_mov_b32 s4, exec_lo
                                        ; implicit-def: $vgpr8
                                        ; implicit-def: $vgpr9
	v_cmpx_ne_u64_e32 0, v[2:3]
; %bb.31:
	v_lshlrev_b32_e32 v0, 5, v7
	s_mov_b32 s0, exec_lo
	s_delay_alu instid0(VALU_DEP_1) | instskip(NEXT) | instid1(VALU_DEP_1)
	v_sub_nc_u32_e32 v8, v4, v0
	v_ashrrev_i32_e32 v0, 31, v8
	s_delay_alu instid0(VALU_DEP_1) | instskip(NEXT) | instid1(VALU_DEP_1)
	v_lshrrev_b32_e32 v0, 27, v0
	v_add_nc_u32_e32 v0, v8, v0
	s_delay_alu instid0(VALU_DEP_1)
	v_ashrrev_i32_e32 v9, 5, v0
	v_dual_mov_b32 v0, v5 :: v_dual_mov_b32 v1, v6
; %bb.32:
	s_or_b32 exec_lo, exec_lo, s4
	v_dual_mov_b32 v5, v3 :: v_dual_mov_b32 v4, v2
	s_and_b32 s0, s0, exec_lo
.LBB4_33:
	s_or_b32 exec_lo, exec_lo, s3
	s_delay_alu instid0(SALU_CYCLE_1)
	s_and_b32 exec_lo, exec_lo, s0
	s_cbranch_execz .LBB4_42
.LBB4_34:
	v_ashrrev_i32_e32 v2, 31, v5
	s_mov_b32 s0, exec_lo
	s_delay_alu instid0(VALU_DEP_1) | instskip(NEXT) | instid1(VALU_DEP_1)
	v_lshrrev_b32_e32 v2, 24, v2
	v_add_co_u32 v2, vcc_lo, v4, v2
	v_add_co_ci_u32_e32 v3, vcc_lo, 0, v5, vcc_lo
	s_delay_alu instid0(VALU_DEP_1) | instskip(SKIP_1) | instid1(VALU_DEP_2)
	v_ashrrev_i64 v[6:7], 8, v[2:3]
	v_ashrrev_i32_e32 v3, 31, v9
	v_sub_co_u32 v2, vcc_lo, v6, v9
	s_delay_alu instid0(VALU_DEP_2) | instskip(NEXT) | instid1(VALU_DEP_1)
	v_sub_co_ci_u32_e32 v3, vcc_lo, v7, v3, vcc_lo
	v_cmpx_lt_i64_e32 0, v[2:3]
	s_cbranch_execz .LBB4_38
; %bb.35:
	v_ashrrev_i32_e32 v16, 31, v8
	v_ashrrev_i32_e32 v17, 31, v18
	v_add_co_u32 v25, vcc_lo, v14, v0
	v_add_co_ci_u32_e32 v26, vcc_lo, v15, v1, vcc_lo
	s_delay_alu instid0(VALU_DEP_4) | instskip(NEXT) | instid1(VALU_DEP_4)
	v_lshrrev_b32_e32 v16, 27, v16
	v_lshrrev_b32_e32 v17, 27, v17
	s_mov_b32 s3, 0
	s_delay_alu instid0(VALU_DEP_2) | instskip(NEXT) | instid1(VALU_DEP_2)
	v_add_nc_u32_e32 v16, v8, v16
	v_add_nc_u32_e32 v17, v18, v17
	s_delay_alu instid0(VALU_DEP_2) | instskip(NEXT) | instid1(VALU_DEP_2)
	v_and_b32_e32 v19, 0xffffffe0, v16
	v_ashrrev_i32_e32 v16, 5, v17
	s_delay_alu instid0(VALU_DEP_2) | instskip(NEXT) | instid1(VALU_DEP_2)
	v_sub_nc_u32_e32 v17, v8, v19
	v_lshl_add_u32 v23, v16, 8, 0xffffff00
	v_add_co_u32 v19, vcc_lo, v25, v12
	v_add_co_ci_u32_e32 v20, vcc_lo, v26, v13, vcc_lo
	s_delay_alu instid0(VALU_DEP_3) | instskip(SKIP_3) | instid1(VALU_DEP_4)
	v_ashrrev_i32_e32 v24, 31, v23
	v_lshl_add_u32 v17, v9, 8, v17
	v_add_co_u32 v23, vcc_lo, 0x100, v23
	v_ashrrev_i32_e32 v21, 31, v16
	v_add_co_ci_u32_e32 v24, vcc_lo, 0, v24, vcc_lo
	v_add_co_u32 v25, vcc_lo, v25, v10
	v_ashrrev_i32_e32 v22, 31, v17
	v_add_co_ci_u32_e32 v26, vcc_lo, v26, v11, vcc_lo
.LBB4_36:                               ; =>This Inner Loop Header: Depth=1
	v_add_co_u32 v27, vcc_lo, v17, v19
	s_delay_alu instid0(VALU_DEP_3)
	v_add_co_ci_u32_e32 v28, vcc_lo, v22, v20, vcc_lo
	s_clause 0x7
	flat_load_u8 v29, v[27:28] slc dlc
	flat_load_u8 v30, v[27:28] offset:32 slc dlc
	flat_load_u8 v31, v[27:28] offset:64 slc dlc
	;; [unrolled: 1-line block ×7, first 2 shown]
	v_add_co_u32 v27, vcc_lo, v17, v25
	v_add_co_ci_u32_e32 v28, vcc_lo, v22, v26, vcc_lo
	v_sub_co_u32 v2, vcc_lo, v2, v16
	v_sub_co_ci_u32_e32 v3, vcc_lo, v3, v21, vcc_lo
	v_add_co_u32 v19, vcc_lo, v19, v23
	v_add_co_ci_u32_e32 v20, vcc_lo, v20, v24, vcc_lo
	v_add_co_u32 v25, vcc_lo, v25, v23
	v_add_co_ci_u32_e32 v26, vcc_lo, v26, v24, vcc_lo
	v_cmp_gt_i64_e32 vcc_lo, 1, v[2:3]
	s_waitcnt vmcnt(7) lgkmcnt(7)
	flat_store_b8 v[27:28], v29 glc slc dlc
	s_waitcnt vmcnt(6) lgkmcnt(7)
	flat_store_b8 v[27:28], v30 offset:32 glc slc dlc
	s_waitcnt vmcnt(5) lgkmcnt(7)
	flat_store_b8 v[27:28], v31 offset:64 glc slc dlc
	;; [unrolled: 2-line block ×7, first 2 shown]
	s_or_b32 s3, vcc_lo, s3
	s_delay_alu instid0(SALU_CYCLE_1)
	s_and_not1_b32 exec_lo, exec_lo, s3
	s_cbranch_execnz .LBB4_36
; %bb.37:
	s_or_b32 exec_lo, exec_lo, s3
.LBB4_38:
	s_delay_alu instid0(SALU_CYCLE_1) | instskip(SKIP_1) | instid1(VALU_DEP_1)
	s_or_b32 exec_lo, exec_lo, s0
	v_lshlrev_b64 v[6:7], 8, v[6:7]
	v_cmp_ne_u64_e32 vcc_lo, v[4:5], v[6:7]
	s_and_b32 exec_lo, exec_lo, vcc_lo
	s_cbranch_execz .LBB4_42
; %bb.39:
	v_lshlrev_b32_e32 v3, 5, v9
	v_lshlrev_b32_e32 v2, 5, v2
	s_delay_alu instid0(VALU_DEP_2) | instskip(NEXT) | instid1(VALU_DEP_1)
	v_sub_nc_u32_e32 v3, v8, v3
	v_sub_nc_u32_e32 v8, v3, v2
	s_delay_alu instid0(VALU_DEP_1) | instskip(SKIP_1) | instid1(VALU_DEP_2)
	v_ashrrev_i32_e32 v9, 31, v8
	v_add_co_u32 v2, vcc_lo, v6, v8
	v_add_co_ci_u32_e32 v3, vcc_lo, v7, v9, vcc_lo
	s_delay_alu instid0(VALU_DEP_2) | instskip(NEXT) | instid1(VALU_DEP_2)
	v_sub_co_u32 v2, vcc_lo, v4, v2
	v_sub_co_ci_u32_e32 v3, vcc_lo, v5, v3, vcc_lo
	s_delay_alu instid0(VALU_DEP_1)
	v_cmp_lt_i64_e32 vcc_lo, 0, v[2:3]
	s_and_b32 exec_lo, exec_lo, vcc_lo
	s_cbranch_execz .LBB4_42
; %bb.40:
	v_ashrrev_i32_e32 v4, 31, v18
	v_add_co_u32 v0, vcc_lo, v14, v0
	v_add_co_ci_u32_e32 v1, vcc_lo, v15, v1, vcc_lo
	s_delay_alu instid0(VALU_DEP_3) | instskip(NEXT) | instid1(VALU_DEP_3)
	v_lshrrev_b32_e32 v4, 27, v4
	v_add_co_u32 v6, vcc_lo, v0, v6
	s_delay_alu instid0(VALU_DEP_3) | instskip(NEXT) | instid1(VALU_DEP_3)
	v_add_co_ci_u32_e32 v7, vcc_lo, v1, v7, vcc_lo
	v_add_nc_u32_e32 v4, v18, v4
	s_mov_b32 s3, 0
	s_delay_alu instid0(VALU_DEP_1) | instskip(NEXT) | instid1(VALU_DEP_1)
	v_and_b32_e32 v4, 0xffffffe0, v4
	v_subrev_nc_u32_e32 v5, 32, v4
	v_ashrrev_i32_e32 v0, 31, v4
	s_delay_alu instid0(VALU_DEP_2) | instskip(SKIP_1) | instid1(VALU_DEP_2)
	v_ashrrev_i32_e32 v14, 31, v5
	v_add_co_u32 v1, vcc_lo, v5, 32
	v_add_co_ci_u32_e32 v5, vcc_lo, 0, v14, vcc_lo
	v_add_co_u32 v6, vcc_lo, v6, v8
	v_add_co_ci_u32_e32 v7, vcc_lo, v7, v9, vcc_lo
	.p2align	6
.LBB4_41:                               ; =>This Inner Loop Header: Depth=1
	s_delay_alu instid0(VALU_DEP_2) | instskip(NEXT) | instid1(VALU_DEP_2)
	v_add_co_u32 v8, vcc_lo, v12, v6
	v_add_co_ci_u32_e32 v9, vcc_lo, v13, v7, vcc_lo
	v_sub_co_u32 v2, vcc_lo, v2, v4
	v_sub_co_ci_u32_e32 v3, vcc_lo, v3, v0, vcc_lo
	flat_load_u8 v14, v[8:9] slc dlc
	v_add_co_u32 v8, vcc_lo, v10, v6
	v_add_co_ci_u32_e32 v9, vcc_lo, v11, v7, vcc_lo
	v_cmp_gt_i64_e32 vcc_lo, 1, v[2:3]
	v_add_co_u32 v6, s0, v6, v1
	s_delay_alu instid0(VALU_DEP_1)
	v_add_co_ci_u32_e64 v7, s0, v7, v5, s0
	s_or_b32 s3, vcc_lo, s3
	s_waitcnt vmcnt(0) lgkmcnt(0)
	flat_store_b8 v[8:9], v14 glc slc dlc
	s_and_not1_b32 exec_lo, exec_lo, s3
	s_cbranch_execnz .LBB4_41
.LBB4_42:
	s_or_b32 exec_lo, exec_lo, s2
                                        ; implicit-def: $vgpr32_vgpr33
                                        ; implicit-def: $vgpr14_vgpr15
                                        ; implicit-def: $vgpr4_vgpr5
                                        ; implicit-def: $vgpr34_vgpr35
                                        ; implicit-def: $vgpr37
                                        ; implicit-def: $vgpr10_vgpr11
                                        ; implicit-def: $vgpr30
                                        ; implicit-def: $vgpr0
                                        ; implicit-def: $vgpr31
                                        ; implicit-def: $vgpr8_vgpr9
                                        ; implicit-def: $vgpr2_vgpr3
.LBB4_43:
	s_and_not1_saveexec_b32 s21, s1
	s_cbranch_execz .LBB4_1440
; %bb.44:
	s_cbranch_execnz .LBB4_92
; %bb.45:
	ds_load_b64 v[6:7], v0
	s_mov_b32 s1, exec_lo
	s_waitcnt lgkmcnt(0)
	v_cmp_ne_u32_e32 vcc_lo, -1, v6
	v_cndmask_b32_e64 v1, 0, 1, vcc_lo
	v_cmp_ne_u32_e32 vcc_lo, -1, v7
	s_delay_alu instid0(VALU_DEP_2) | instskip(NEXT) | instid1(VALU_DEP_1)
	v_add_co_ci_u32_e64 v6, s0, 0, v1, vcc_lo
	v_lshlrev_b32_e32 v7, 1, v6
	s_delay_alu instid0(VALU_DEP_1)
	v_cmpx_le_i32_e64 v7, v30
	s_xor_b32 s20, exec_lo, s1
	s_cbranch_execz .LBB4_1437
; %bb.46:
	flat_load_b64 v[26:27], v[2:3] offset:104
	s_cbranch_execnz .LBB4_94
; %bb.47:
	s_load_b32 s0, s[8:9], 0x0
	v_dual_mov_b32 v7, 0 :: v_dual_mov_b32 v50, 4
	s_waitcnt lgkmcnt(0)
	s_cmp_lt_u32 s12, s0
	s_cselect_b32 s0, 12, 18
	s_delay_alu instid0(SALU_CYCLE_1)
	s_add_u32 s0, s8, s0
	s_addc_u32 s1, s9, 0
	global_load_u16 v38, v7, s[0:1]
	ds_load_b32 v7, v0
	s_mov_b32 s1, exec_lo
	s_waitcnt lgkmcnt(0)
	v_readfirstlane_b32 s5, v7
	v_cmpx_ge_i32_e64 v0, v1
	s_cbranch_execz .LBB4_57
; %bb.48:
	v_cmp_le_u32_e64 s0, v6, v0
                                        ; implicit-def: $vgpr50
	s_delay_alu instid0(VALU_DEP_1) | instskip(NEXT) | instid1(SALU_CYCLE_1)
	s_and_saveexec_b32 s2, s0
	s_xor_b32 s0, exec_lo, s2
	s_cbranch_execz .LBB4_54
; %bb.49:
	v_cndmask_b32_e64 v7, 0, 1, vcc_lo
	s_mov_b32 s2, exec_lo
                                        ; implicit-def: $sgpr3
	s_delay_alu instid0(VALU_DEP_1) | instskip(NEXT) | instid1(VALU_DEP_1)
	v_sub_nc_u32_e32 v7, v30, v7
	v_cmpx_ge_u32_e64 v0, v7
	s_xor_b32 s2, exec_lo, s2
; %bb.50:
	s_mov_b32 s3, 16
                                        ; implicit-def: $vgpr6
; %bb.51:
	s_or_saveexec_b32 s2, s2
	v_mov_b32_e32 v50, s3
	s_xor_b32 exec_lo, exec_lo, s2
; %bb.52:
	v_sub_nc_u32_e32 v6, v30, v6
	s_delay_alu instid0(VALU_DEP_1) | instskip(SKIP_1) | instid1(VALU_DEP_1)
	v_cmp_ge_i32_e32 vcc_lo, v0, v6
	v_cndmask_b32_e64 v6, 0, 1, vcc_lo
	v_lshlrev_b32_e32 v50, 5, v6
; %bb.53:
	s_or_b32 exec_lo, exec_lo, s2
.LBB4_54:
	s_and_not1_saveexec_b32 s0, s0
; %bb.55:
	v_mov_b32_e32 v50, 8
; %bb.56:
	s_or_b32 exec_lo, exec_lo, s0
.LBB4_57:
	s_delay_alu instid0(SALU_CYCLE_1) | instskip(SKIP_1) | instid1(VALU_DEP_1)
	s_or_b32 exec_lo, exec_lo, s1
	s_waitcnt vmcnt(3)
	v_dual_mov_b32 v35, -1 :: v_dual_and_b32 v6, 36, v50
	s_delay_alu instid0(VALU_DEP_1)
	v_cmp_ne_u32_e32 vcc_lo, 0, v6
	s_and_saveexec_b32 s0, vcc_lo
	s_cbranch_execz .LBB4_60
; %bb.58:
	s_cbranch_execnz .LBB4_96
; %bb.59:
	ds_load_b32 v35, v0
.LBB4_60:
	s_or_b32 exec_lo, exec_lo, s0
	v_and_b32_e32 v6, 24, v50
	s_mov_b32 s1, exec_lo
	s_delay_alu instid0(VALU_DEP_1)
	v_cmpx_ne_u32_e32 0, v6
	s_cbranch_execz .LBB4_63
; %bb.61:
	s_cbranch_execnz .LBB4_98
; %bb.62:
	s_waitcnt lgkmcnt(0)
	ds_load_b32 v35, v0
.LBB4_63:
	s_or_b32 exec_lo, exec_lo, s1
	v_lshrrev_b64 v[6:7], 31, v[8:9]
	v_mov_b32_e32 v18, 0
	v_mov_b32_e32 v19, 0
                                        ; implicit-def: $vgpr16_vgpr17
                                        ; implicit-def: $vgpr51
                                        ; implicit-def: $vgpr22_vgpr23
                                        ; implicit-def: $vgpr28_vgpr29
                                        ; implicit-def: $vgpr20_vgpr21
	s_delay_alu instid0(VALU_DEP_2) | instskip(NEXT) | instid1(VALU_DEP_2)
	v_dual_mov_b32 v6, v18 :: v_dual_and_b32 v39, 3, v6
	v_mov_b32_e32 v7, v19
	s_and_saveexec_b32 s0, vcc_lo
	s_cbranch_execz .LBB4_76
; %bb.64:
	s_cbranch_execnz .LBB4_100
; %bb.65:
	ds_load_b64 v[6:7], v0
	s_waitcnt lgkmcnt(1)
	v_ashrrev_i32_e32 v36, 31, v35
	v_and_b32_e32 v16, 0xffff, v39
	s_mov_b32 s1, exec_lo
	s_delay_alu instid0(VALU_DEP_2) | instskip(SKIP_1) | instid1(VALU_DEP_1)
	v_lshlrev_b64 v[8:9], 3, v[35:36]
	s_waitcnt lgkmcnt(0)
	v_add_co_u32 v6, vcc_lo, v6, v8
	s_delay_alu instid0(VALU_DEP_2)
	v_add_co_ci_u32_e32 v7, vcc_lo, v7, v9, vcc_lo
	flat_load_b64 v[6:7], v[6:7]
	s_waitcnt vmcnt(0) lgkmcnt(0)
	v_mad_u64_u32 v[8:9], null, 0xa8, v16, v[6:7]
                                        ; implicit-def: $vgpr16_vgpr17
	flat_load_b32 v6, v[8:9] offset:640
	v_add_co_u32 v18, vcc_lo, 0x1f8, v8
	v_add_co_ci_u32_e32 v19, vcc_lo, 0, v9, vcc_lo
	s_waitcnt vmcnt(0) lgkmcnt(0)
	v_cmpx_eq_u32_e32 1, v6
	s_cbranch_execz .LBB4_68
; %bb.66:
	flat_load_b64 v[16:17], v[18:19] offset:144
	s_waitcnt vmcnt(0) lgkmcnt(0)
	flat_load_b64 v[6:7], v[16:17]
	s_cbranch_execnz .LBB4_1165
; %bb.67:
	s_waitcnt vmcnt(0) lgkmcnt(0)
	ds_store_b64 v0, v[6:7]
	flat_load_b64 v[6:7], v[16:17] offset:8
	v_or_b32_e32 v50, 0x2000, v50
	s_waitcnt vmcnt(0) lgkmcnt(0)
	ds_store_b64 v0, v[6:7]
	flat_load_b64 v[6:7], v[16:17] offset:16
	s_waitcnt vmcnt(0) lgkmcnt(0)
	ds_store_b64 v0, v[6:7]
.LBB4_68:
	s_or_b32 exec_lo, exec_lo, s1
	flat_load_b64 v[8:9], v[18:19] offset:104
	v_and_b32_e32 v6, 32, v50
	s_mov_b32 s1, exec_lo
                                        ; implicit-def: $vgpr20_vgpr21
	s_delay_alu instid0(VALU_DEP_1)
	v_cmpx_ne_u32_e32 0, v6
	s_cbranch_execz .LBB4_70
; %bb.69:
	flat_load_b64 v[20:21], v[18:19] offset:56
	s_waitcnt vmcnt(0) lgkmcnt(0)
	s_waitcnt_vscnt null, 0x0
	flat_store_b64 v[20:21], v[8:9]
.LBB4_70:
	s_or_b32 exec_lo, exec_lo, s1
	v_and_b32_e32 v22, 4, v50
	v_mov_b32_e32 v6, 0
	v_mov_b32_e32 v7, 0
                                        ; implicit-def: $vgpr51
                                        ; implicit-def: $vgpr28_vgpr29
	s_delay_alu instid0(VALU_DEP_3)
	v_cmp_ne_u32_e32 vcc_lo, 0, v22
                                        ; implicit-def: $vgpr22_vgpr23
	s_and_saveexec_b32 s1, vcc_lo
	s_cbranch_execz .LBB4_75
; %bb.71:
	v_and_b32_e32 v6, 0x800, v50
	s_mov_b32 s2, exec_lo
	s_delay_alu instid0(VALU_DEP_1)
	v_cmpx_eq_u32_e32 0, v6
	s_cbranch_execz .LBB4_74
; %bb.72:
	s_cbranch_execnz .LBB4_1167
; %bb.73:
	ds_store_b64 v0, v[18:19]
.LBB4_74:
	s_or_b32 exec_lo, exec_lo, s2
	flat_load_b64 v[20:21], v[18:19] offset:48
	v_or_b32_e32 v24, 0x100, v50
	s_waitcnt vmcnt(0) lgkmcnt(0)
	flat_load_b64 v[28:29], v[20:21] glc
	s_clause 0x2
	flat_load_b64 v[6:7], v[18:19] offset:96
	flat_load_b32 v51, v[18:19] offset:72
	flat_load_b64 v[22:23], v[18:19] offset:16
	s_waitcnt vmcnt(2) lgkmcnt(2)
	v_cmp_eq_u64_e32 vcc_lo, 0, v[6:7]
	v_cndmask_b32_e32 v50, v24, v50, vcc_lo
.LBB4_75:
	s_or_b32 exec_lo, exec_lo, s1
.LBB4_76:
	s_delay_alu instid0(SALU_CYCLE_1) | instskip(NEXT) | instid1(VALU_DEP_1)
	s_or_b32 exec_lo, exec_lo, s0
	v_and_b32_e32 v24, 24, v50
	s_delay_alu instid0(VALU_DEP_1)
	v_cmp_ne_u32_e32 vcc_lo, 0, v24
                                        ; implicit-def: $vgpr24_vgpr25
	s_and_saveexec_b32 s0, vcc_lo
	s_cbranch_execz .LBB4_86
; %bb.77:
	s_cbranch_execnz .LBB4_102
; %bb.78:
	ds_load_b64 v[6:7], v0
	s_waitcnt lgkmcnt(1)
	v_ashrrev_i32_e32 v36, 31, v35
	v_or_b32_e32 v24, 0x100, v50
	s_waitcnt vmcnt(0)
	s_delay_alu instid0(VALU_DEP_2) | instskip(SKIP_1) | instid1(VALU_DEP_1)
	v_lshlrev_b64 v[8:9], 3, v[35:36]
	s_waitcnt lgkmcnt(0)
	v_add_co_u32 v6, vcc_lo, v6, v8
	s_delay_alu instid0(VALU_DEP_2)
	v_add_co_ci_u32_e32 v7, vcc_lo, v7, v9, vcc_lo
	v_and_b32_e32 v8, 0xffff, v39
	flat_load_b64 v[6:7], v[6:7]
	s_waitcnt vmcnt(0) lgkmcnt(0)
	v_mad_u64_u32 v[18:19], null, 0xa8, v8, v[6:7]
	flat_load_b128 v[6:9], v[18:19] offset:96
	s_waitcnt vmcnt(0) lgkmcnt(0)
	v_cmp_eq_u64_e32 vcc_lo, 0, v[6:7]
	v_cndmask_b32_e32 v50, v24, v50, vcc_lo
	s_delay_alu instid0(VALU_DEP_1) | instskip(NEXT) | instid1(VALU_DEP_1)
	v_and_b32_e32 v24, 16, v50
	v_cmp_ne_u32_e32 vcc_lo, 0, v24
                                        ; implicit-def: $vgpr24_vgpr25
	s_and_saveexec_b32 s1, vcc_lo
; %bb.79:
	s_clause 0x2
	flat_load_b64 v[24:25], v[18:19] offset:120
	flat_load_b64 v[20:21], v[18:19] offset:48
	;; [unrolled: 1-line block ×3, first 2 shown]
; %bb.80:
	s_or_b32 exec_lo, exec_lo, s1
	v_and_b32_e32 v35, 8, v50
	s_mov_b32 s1, exec_lo
	s_delay_alu instid0(VALU_DEP_1)
	v_cmpx_ne_u32_e32 0, v35
	s_cbranch_execz .LBB4_85
; %bb.81:
	s_waitcnt vmcnt(1) lgkmcnt(1)
	v_and_b32_e32 v20, 0x800, v50
	s_mov_b32 s2, exec_lo
	s_delay_alu instid0(VALU_DEP_1)
	v_cmpx_eq_u32_e32 0, v20
	s_cbranch_execz .LBB4_84
; %bb.82:
	s_cbranch_execnz .LBB4_1169
; %bb.83:
	ds_store_b64 v0, v[18:19]
.LBB4_84:
	s_or_b32 exec_lo, exec_lo, s2
	flat_load_b64 v[20:21], v[18:19] offset:56
	s_waitcnt vmcnt(0) lgkmcnt(0)
	flat_load_b64 v[28:29], v[20:21] glc
	s_clause 0x1
	flat_load_b32 v51, v[18:19] offset:72
	flat_load_b64 v[22:23], v[18:19] offset:16
.LBB4_85:
	s_or_b32 exec_lo, exec_lo, s1
.LBB4_86:
	s_delay_alu instid0(SALU_CYCLE_1) | instskip(SKIP_1) | instid1(VALU_DEP_1)
	s_or_b32 exec_lo, exec_lo, s0
	v_cmp_eq_u32_e64 s0, 0, v0
	s_and_saveexec_b32 s1, s0
	s_cbranch_execz .LBB4_89
; %bb.87:
	s_waitcnt lgkmcnt(0)
	flat_load_b64 v[35:36], v[2:3] offset:32
	s_waitcnt vmcnt(3)
	v_dual_mov_b32 v48, v12 :: v_dual_mov_b32 v49, v13
	v_dual_mov_b32 v52, v10 :: v_dual_mov_b32 v53, v11
	ds_store_2addr_b64 v0, v[48:49], v[52:53] offset1:1
	s_cbranch_execnz .LBB4_104
; %bb.88:
	s_waitcnt vmcnt(0) lgkmcnt(1)
	ds_store_b64 v0, v[35:36]
	ds_store_b64 v0, v[26:27]
.LBB4_89:
	s_or_b32 exec_lo, exec_lo, s1
	s_waitcnt vmcnt(1)
	v_mov_b32_e32 v26, 0
	s_waitcnt vmcnt(0)
	v_dual_mov_b32 v27, 0 :: v_dual_and_b32 v52, 0xffff, v38
	s_mov_b32 s22, exec_lo
	v_cmpx_ne_u64_e32 0, v[4:5]
	s_cbranch_execz .LBB4_1186
; %bb.90:
	flat_load_b32 v26, v[2:3] offset:4
	v_mov_b32_e32 v2, 0
	v_cmp_ne_u32_e64 s1, v32, v37
	v_cmp_ne_u32_e64 s2, v33, v37
	s_mov_b32 s23, 0
	s_cbranch_execnz .LBB4_1163
; %bb.91:
	v_cvt_f64_u32_e32 v[32:33], 0
	v_dual_mov_b32 v36, 0 :: v_dual_lshlrev_b32 v3, 9, v34
	v_ashrrev_i32_e32 v27, 31, v0
	v_lshrrev_b32_e32 v54, 5, v30
	s_delay_alu instid0(VALU_DEP_3) | instskip(SKIP_1) | instid1(VALU_DEP_3)
	v_dual_mov_b32 v98, 1 :: v_dual_and_b32 v3, 0x3ffffe00, v3
	s_ashr_i32 s6, s5, 31
	v_lshrrev_b32_e32 v27, 27, v27
	s_delay_alu instid0(VALU_DEP_3)
	v_lshlrev_b32_e32 v65, 9, v54
	s_lshr_b32 s6, s6, 24
	s_waitcnt lgkmcnt(1)
	v_cvt_f64_u32_e32 v[34:35], v3
	s_add_i32 s6, s5, s6
	v_add_nc_u32_e32 v27, v0, v27
	v_add_nc_u32_e32 v67, 0xfffffe00, v65
	s_ashr_i32 s24, s6, 8
	s_waitcnt vmcnt(0) lgkmcnt(0)
	v_and_b32_e32 v26, 1, v26
	v_cmp_ne_u64_e64 s15, v[12:13], v[10:11]
	v_ashrrev_i32_e32 v68, 5, v27
	v_ashrrev_i32_e32 v70, 31, v67
	v_add_co_u32 v80, s10, 0x200, v67
	v_cmp_eq_u32_e32 vcc_lo, 32, v30
	v_cmp_eq_u64_e64 s12, 0, v[24:25]
	s_delay_alu instid0(VALU_DEP_4)
	v_add_co_ci_u32_e64 v81, s10, 0, v70, s10
	v_cmp_ne_u64_e64 s13, 0, v[24:25]
	v_ashrrev_i32_e32 v53, 31, v51
	v_cmp_ne_u32_e64 s3, 32, v30
	v_cmp_ne_u32_e64 s4, v30, v52
	v_sub_nc_u32_e32 v71, 0, v68
	s_xor_b32 s14, s14, -1
	s_xor_b32 s27, vcc_lo, -1
	s_and_b32 s26, s14, s15
	v_dual_mov_b32 v37, 0 :: v_dual_and_b32 v64, 0xffffffe0, v30
	v_lshlrev_b32_e32 v55, 4, v0
	v_ldexp_f64 v[32:33], v[32:33], 32
	s_delay_alu instid0(VALU_DEP_1) | instskip(SKIP_3) | instid1(VALU_DEP_3)
	v_add_f64 v[32:33], v[32:33], v[34:35]
	v_and_b32_e32 v35, 0xffffffe0, v27
	v_lshl_add_u32 v27, v54, 8, 0xffffff00
	v_and_b32_e32 v34, 31, v31
	v_sub_nc_u32_e32 v69, v0, v35
	s_delay_alu instid0(VALU_DEP_3) | instskip(NEXT) | instid1(VALU_DEP_3)
	v_add_co_u32 v83, s10, 0x100, v27
	v_cmp_eq_u32_e64 s5, 0, v34
	v_lshlrev_b32_e32 v34, 10, v68
	s_delay_alu instid0(VALU_DEP_4) | instskip(SKIP_2) | instid1(VALU_DEP_4)
	v_cmp_lt_i32_e64 s6, v69, v1
	v_cmp_le_i32_e64 s7, v69, v1
	v_ashrrev_i32_e32 v1, 31, v27
	v_lshl_add_u32 v34, v69, 4, v34
	s_delay_alu instid0(VALU_DEP_2) | instskip(SKIP_1) | instid1(VALU_DEP_3)
	v_add_co_ci_u32_e64 v84, s10, 0, v1, s10
	v_lshl_add_u32 v1, v54, 10, 0xfffffc00
	v_ashrrev_i32_e32 v35, 31, v34
	s_delay_alu instid0(VALU_DEP_2) | instskip(SKIP_1) | instid1(VALU_DEP_1)
	v_ashrrev_i32_e32 v27, 31, v1
	v_add_co_u32 v96, s11, 0x400, v1
	v_add_co_ci_u32_e64 v97, s11, 0, v27, s11
	v_cmp_eq_u32_e64 s11, 1, v26
	v_dual_mov_b32 v26, v36 :: v_dual_mov_b32 v27, v37
	v_subrev_nc_u32_e32 v82, 32, v64
	v_ashrrev_i32_e32 v66, 31, v55
	s_delay_alu instid0(VALU_DEP_4) | instskip(SKIP_1) | instid1(VALU_DEP_3)
	s_xor_b32 s25, s11, -1
	v_max_f64 v[32:33], v[32:33], v[32:33]
	v_ashrrev_i32_e32 v85, 31, v82
	v_add_co_u32 v86, s10, v82, 32
	s_delay_alu instid0(VALU_DEP_1)
	v_add_co_ci_u32_e64 v87, s10, 0, v85, s10
	v_cmp_gt_i32_e64 s10, 1, v69
	s_branch .LBB4_107
.LBB4_92:
	s_trap 2
	s_sendmsg_rtn_b32 s0, sendmsg(MSG_RTN_GET_DOORBELL)
	s_mov_b32 ttmp2, m0
	s_waitcnt lgkmcnt(0)
	s_and_b32 s0, s0, 0x3ff
	s_delay_alu instid0(SALU_CYCLE_1) | instskip(NEXT) | instid1(SALU_CYCLE_1)
	s_bitset1_b32 s0, 10
	s_mov_b32 m0, s0
	s_sendmsg sendmsg(MSG_INTERRUPT)
	s_mov_b32 m0, ttmp2
.LBB4_93:                               ; =>This Inner Loop Header: Depth=1
	s_sethalt 5
	s_branch .LBB4_93
.LBB4_94:
	s_trap 2
	s_sendmsg_rtn_b32 s0, sendmsg(MSG_RTN_GET_DOORBELL)
	s_mov_b32 ttmp2, m0
	s_waitcnt lgkmcnt(0)
	s_and_b32 s0, s0, 0x3ff
	s_delay_alu instid0(SALU_CYCLE_1) | instskip(NEXT) | instid1(SALU_CYCLE_1)
	s_bitset1_b32 s0, 10
	s_mov_b32 m0, s0
	s_sendmsg sendmsg(MSG_INTERRUPT)
	s_mov_b32 m0, ttmp2
.LBB4_95:                               ; =>This Inner Loop Header: Depth=1
	s_sethalt 5
	s_branch .LBB4_95
.LBB4_96:
	s_trap 2
	s_sendmsg_rtn_b32 s0, sendmsg(MSG_RTN_GET_DOORBELL)
	s_mov_b32 ttmp2, m0
	s_waitcnt lgkmcnt(0)
	s_and_b32 s0, s0, 0x3ff
	s_delay_alu instid0(SALU_CYCLE_1) | instskip(NEXT) | instid1(SALU_CYCLE_1)
	s_bitset1_b32 s0, 10
	s_mov_b32 m0, s0
	s_sendmsg sendmsg(MSG_INTERRUPT)
	s_mov_b32 m0, ttmp2
.LBB4_97:                               ; =>This Inner Loop Header: Depth=1
	s_sethalt 5
	s_branch .LBB4_97
.LBB4_98:
	s_trap 2
	s_sendmsg_rtn_b32 s0, sendmsg(MSG_RTN_GET_DOORBELL)
	s_mov_b32 ttmp2, m0
	s_waitcnt lgkmcnt(0)
	s_and_b32 s0, s0, 0x3ff
	s_delay_alu instid0(SALU_CYCLE_1) | instskip(NEXT) | instid1(SALU_CYCLE_1)
	s_bitset1_b32 s0, 10
	s_mov_b32 m0, s0
	s_sendmsg sendmsg(MSG_INTERRUPT)
	s_mov_b32 m0, ttmp2
.LBB4_99:                               ; =>This Inner Loop Header: Depth=1
	s_sethalt 5
	s_branch .LBB4_99
.LBB4_100:
	s_trap 2
	s_sendmsg_rtn_b32 s0, sendmsg(MSG_RTN_GET_DOORBELL)
	s_mov_b32 ttmp2, m0
	s_waitcnt lgkmcnt(0)
	s_and_b32 s0, s0, 0x3ff
	s_delay_alu instid0(SALU_CYCLE_1) | instskip(NEXT) | instid1(SALU_CYCLE_1)
	s_bitset1_b32 s0, 10
	s_mov_b32 m0, s0
	s_sendmsg sendmsg(MSG_INTERRUPT)
	s_mov_b32 m0, ttmp2
.LBB4_101:                              ; =>This Inner Loop Header: Depth=1
	s_sethalt 5
	s_branch .LBB4_101
.LBB4_102:
	s_trap 2
	s_sendmsg_rtn_b32 s0, sendmsg(MSG_RTN_GET_DOORBELL)
	s_mov_b32 ttmp2, m0
	s_waitcnt lgkmcnt(0)
	s_and_b32 s0, s0, 0x3ff
	s_delay_alu instid0(SALU_CYCLE_1) | instskip(NEXT) | instid1(SALU_CYCLE_1)
	s_bitset1_b32 s0, 10
	s_mov_b32 m0, s0
	s_sendmsg sendmsg(MSG_INTERRUPT)
	s_mov_b32 m0, ttmp2
.LBB4_103:                              ; =>This Inner Loop Header: Depth=1
	s_sethalt 5
	s_branch .LBB4_103
.LBB4_104:
	s_trap 2
	s_sendmsg_rtn_b32 s0, sendmsg(MSG_RTN_GET_DOORBELL)
	s_mov_b32 ttmp2, m0
	s_waitcnt lgkmcnt(0)
	s_and_b32 s0, s0, 0x3ff
	s_delay_alu instid0(SALU_CYCLE_1) | instskip(NEXT) | instid1(SALU_CYCLE_1)
	s_bitset1_b32 s0, 10
	s_mov_b32 m0, s0
	s_sendmsg sendmsg(MSG_INTERRUPT)
	s_mov_b32 m0, ttmp2
.LBB4_105:                              ; =>This Inner Loop Header: Depth=1
	s_sethalt 5
	s_branch .LBB4_105
.LBB4_106:                              ;   in Loop: Header=BB4_107 Depth=1
	s_or_b32 exec_lo, exec_lo, s14
	v_add_co_u32 v36, vcc_lo, v36, v3
	v_add_co_ci_u32_e32 v37, vcc_lo, 0, v37, vcc_lo
	s_delay_alu instid0(VALU_DEP_1) | instskip(SKIP_1) | instid1(SALU_CYCLE_1)
	v_cmp_ge_u64_e32 vcc_lo, v[36:37], v[4:5]
	s_or_b32 s23, vcc_lo, s23
	s_and_not1_b32 exec_lo, exec_lo, s23
	s_cbranch_execz .LBB4_1185
.LBB4_107:                              ; =>This Loop Header: Depth=1
                                        ;     Child Loop BB4_119 Depth 2
                                        ;     Child Loop BB4_151 Depth 2
	;; [unrolled: 1-line block ×4, first 2 shown]
                                        ;       Child Loop BB4_200 Depth 3
                                        ;     Child Loop BB4_207 Depth 2
                                        ;       Child Loop BB4_208 Depth 3
                                        ;     Child Loop BB4_219 Depth 2
                                        ;     Child Loop BB4_225 Depth 2
                                        ;       Child Loop BB4_226 Depth 3
                                        ;     Child Loop BB4_239 Depth 2
                                        ;     Child Loop BB4_245 Depth 2
	;; [unrolled: 1-line block ×25, first 2 shown]
                                        ;       Child Loop BB4_724 Depth 3
                                        ;     Child Loop BB4_731 Depth 2
                                        ;       Child Loop BB4_732 Depth 3
                                        ;     Child Loop BB4_743 Depth 2
                                        ;     Child Loop BB4_749 Depth 2
                                        ;       Child Loop BB4_750 Depth 3
                                        ;     Child Loop BB4_763 Depth 2
                                        ;     Child Loop BB4_769 Depth 2
	;; [unrolled: 1-line block ×21, first 2 shown]
	v_sub_co_u32 v1, vcc_lo, v4, v36
	v_sub_co_ci_u32_e32 v10, vcc_lo, v5, v37, vcc_lo
	s_mov_b32 s28, 0
	s_delay_alu instid0(VALU_DEP_2) | instskip(NEXT) | instid1(VALU_DEP_2)
	v_cvt_f64_u32_e32 v[12:13], v1
	v_cvt_f64_u32_e32 v[10:11], v10
	s_delay_alu instid0(VALU_DEP_1) | instskip(NEXT) | instid1(VALU_DEP_1)
	v_ldexp_f64 v[10:11], v[10:11], 32
	v_add_f64 v[10:11], v[10:11], v[12:13]
	s_delay_alu instid0(VALU_DEP_1) | instskip(NEXT) | instid1(VALU_DEP_1)
	v_min_f64 v[10:11], v[32:33], v[10:11]
	v_cvt_i32_f64_e32 v11, v[10:11]
	s_delay_alu instid0(VALU_DEP_1) | instskip(SKIP_2) | instid1(VALU_DEP_3)
	v_max_i32_e32 v99, 0, v11
	v_cmp_gt_i32_e64 s14, 1, v11
	v_cmp_lt_i32_e64 s15, 0, v11
	v_add_nc_u32_e32 v1, 15, v99
	s_delay_alu instid0(VALU_DEP_1) | instskip(NEXT) | instid1(VALU_DEP_1)
	v_ashrrev_i32_e32 v10, 31, v1
	v_lshrrev_b32_e32 v10, 28, v10
	s_delay_alu instid0(VALU_DEP_1) | instskip(NEXT) | instid1(VALU_DEP_1)
	v_add_nc_u32_e32 v1, v1, v10
	v_and_b32_e32 v12, -16, v1
	v_add_co_u32 v1, vcc_lo, v36, v14
	v_add_co_ci_u32_e32 v10, vcc_lo, v37, v15, vcc_lo
	s_delay_alu instid0(VALU_DEP_3) | instskip(SKIP_1) | instid1(SALU_CYCLE_1)
	v_max_i32_e32 v38, s24, v12
	s_and_saveexec_b32 s16, s1
	s_xor_b32 s29, exec_lo, s16
	s_cbranch_execz .LBB4_636
; %bb.108:                              ;   in Loop: Header=BB4_107 Depth=1
	s_mov_b32 s18, 0
	s_and_saveexec_b32 s16, s2
	s_delay_alu instid0(SALU_CYCLE_1)
	s_xor_b32 s28, exec_lo, s16
	s_cbranch_execz .LBB4_400
; %bb.109:                              ;   in Loop: Header=BB4_107 Depth=1
	v_mov_b32_e32 v12, 0
	s_and_saveexec_b32 vcc_hi, s15
	s_cbranch_execz .LBB4_317
; %bb.110:                              ;   in Loop: Header=BB4_107 Depth=1
	s_and_saveexec_b32 s17, s0
	s_cbranch_execz .LBB4_113
; %bb.111:                              ;   in Loop: Header=BB4_107 Depth=1
	s_cbranch_execnz .LBB4_1171
; %bb.112:                              ;   in Loop: Header=BB4_107 Depth=1
	ds_load_b128 v[100:103], v0
	s_waitcnt lgkmcnt(0)
	v_add_co_u32 v13, vcc_lo, v102, v1
	v_add_co_ci_u32_e32 v39, vcc_lo, v103, v10, vcc_lo
	v_cmp_ne_u64_e32 vcc_lo, 0, v[102:103]
	v_add_co_u32 v11, s16, v100, v1
	s_delay_alu instid0(VALU_DEP_1) | instskip(NEXT) | instid1(VALU_DEP_4)
	v_add_co_ci_u32_e64 v12, s16, v101, v10, s16
	v_dual_cndmask_b32 v49, 0, v39 :: v_dual_cndmask_b32 v48, 0, v13
	ds_store_b64 v0, v[11:12]
	ds_store_b64 v0, v[48:49]
.LBB4_113:                              ;   in Loop: Header=BB4_107 Depth=1
	s_or_b32 exec_lo, exec_lo, s17
	v_and_b32_e32 v1, 12, v50
	s_mov_b32 s17, -1
	s_mov_b32 s16, exec_lo
	s_delay_alu instid0(VALU_DEP_1)
	v_cmpx_ne_u32_e32 0, v1
	s_cbranch_execz .LBB4_127
; %bb.114:                              ;   in Loop: Header=BB4_107 Depth=1
	v_and_b32_e32 v1, 8, v50
	s_delay_alu instid0(VALU_DEP_1) | instskip(SKIP_3) | instid1(VALU_DEP_1)
	v_add_co_u32 v12, vcc_lo, v28, v1
	v_add_co_ci_u32_e32 v13, vcc_lo, 0, v29, vcc_lo
	v_add_co_u32 v10, vcc_lo, v8, 1
	v_add_co_ci_u32_e32 v11, vcc_lo, 0, v9, vcc_lo
	v_cmp_lt_u64_e32 vcc_lo, v[12:13], v[10:11]
	v_mov_b32_e32 v12, 1
	s_and_saveexec_b32 s17, vcc_lo
	s_cbranch_execz .LBB4_126
; %bb.115:                              ;   in Loop: Header=BB4_107 Depth=1
	v_mov_b32_e32 v12, 0
                                        ; implicit-def: $sgpr19
	s_branch .LBB4_119
.LBB4_116:                              ;   in Loop: Header=BB4_119 Depth=2
	s_or_b32 exec_lo, exec_lo, s35
	v_mov_b32_e32 v13, 0
	s_or_not1_b32 s34, s34, exec_lo
.LBB4_117:                              ;   in Loop: Header=BB4_119 Depth=2
	s_or_b32 exec_lo, exec_lo, s31
	s_delay_alu instid0(VALU_DEP_1) | instskip(SKIP_2) | instid1(SALU_CYCLE_1)
	v_mov_b32_e32 v12, v13
	s_and_not1_b32 s19, s19, exec_lo
	s_and_b32 vcc_lo, s34, exec_lo
	s_or_b32 s19, s19, vcc_lo
.LBB4_118:                              ;   in Loop: Header=BB4_119 Depth=2
	s_or_b32 exec_lo, exec_lo, s30
	s_waitcnt vmcnt(0) lgkmcnt(0)
	v_add_co_u32 v48, vcc_lo, v28, v1
	v_add_co_ci_u32_e32 v49, vcc_lo, 0, v29, vcc_lo
	s_xor_b32 s30, s19, -1
	s_delay_alu instid0(VALU_DEP_1) | instskip(SKIP_1) | instid1(SALU_CYCLE_1)
	v_cmp_ge_u64_e32 vcc_lo, v[48:49], v[10:11]
	s_or_b32 vcc_lo, s30, vcc_lo
	s_and_b32 vcc_lo, exec_lo, vcc_lo
	s_delay_alu instid0(SALU_CYCLE_1) | instskip(NEXT) | instid1(SALU_CYCLE_1)
	s_or_b32 s18, vcc_lo, s18
	s_and_not1_b32 exec_lo, exec_lo, s18
	s_cbranch_execz .LBB4_125
.LBB4_119:                              ;   Parent Loop BB4_107 Depth=1
                                        ; =>  This Inner Loop Header: Depth=2
	s_sleep 1
	flat_load_b64 v[28:29], v[20:21] glc
	v_and_b32_e32 v13, 64, v50
	s_and_not1_b32 s19, s19, exec_lo
	s_mov_b32 s30, exec_lo
	s_delay_alu instid0(VALU_DEP_1)
	v_cmpx_eq_u32_e32 0, v13
	s_cbranch_execz .LBB4_118
; %bb.120:                              ;   in Loop: Header=BB4_119 Depth=2
	v_add_nc_u32_e32 v13, 1, v12
	s_mov_b32 s34, -1
	s_mov_b32 s31, exec_lo
	v_cmpx_lt_i32_e32 0x270e, v12
	s_cbranch_execz .LBB4_117
; %bb.121:                              ;   in Loop: Header=BB4_119 Depth=2
	s_cbranch_execnz .LBB4_1225
; %bb.122:                              ;   in Loop: Header=BB4_119 Depth=2
	ds_load_b64 v[12:13], v0
	s_mov_b32 s35, exec_lo
	s_waitcnt vmcnt(0) lgkmcnt(0)
	s_waitcnt_vscnt null, 0x0
	flat_load_b32 v12, v[12:13] glc
	s_waitcnt vmcnt(0) lgkmcnt(0)
	buffer_gl1_inv
	buffer_gl0_inv
	v_cmpx_ne_u32_e32 0, v12
	s_cbranch_execz .LBB4_116
; %bb.123:                              ;   in Loop: Header=BB4_119 Depth=2
	ds_store_b32 v0, v12
	s_cbranch_execnz .LBB4_1270
; %bb.124:                              ;   in Loop: Header=BB4_119 Depth=2
	v_or_b32_e32 v50, 64, v50
	s_xor_b32 s34, exec_lo, -1
	s_branch .LBB4_116
.LBB4_125:                              ;   in Loop: Header=BB4_107 Depth=1
	s_or_b32 exec_lo, exec_lo, s18
	v_and_b32_e32 v12, 12, v50
.LBB4_126:                              ;   in Loop: Header=BB4_107 Depth=1
	s_or_b32 exec_lo, exec_lo, s17
	s_delay_alu instid0(VALU_DEP_1)
	v_cmp_eq_u32_e32 vcc_lo, 0, v12
	;;#ASMSTART
	s_wakeup
	;;#ASMEND
	s_or_not1_b32 s17, vcc_lo, exec_lo
.LBB4_127:                              ;   in Loop: Header=BB4_107 Depth=1
	s_or_b32 exec_lo, exec_lo, s16
	v_min_i32_e32 v38, v38, v99
	s_xor_b32 s16, s17, -1
	s_delay_alu instid0(SALU_CYCLE_1)
	s_and_saveexec_b32 s17, s16
	s_cbranch_execz .LBB4_142
; %bb.128:                              ;   in Loop: Header=BB4_107 Depth=1
	v_and_b32_e32 v1, 0x108, v50
	s_mov_b32 s16, exec_lo
	s_delay_alu instid0(VALU_DEP_1)
	v_cmpx_ne_u32_e32 0x108, v1
	s_xor_b32 s16, exec_lo, s16
                                        ; implicit-def: $vgpr10_vgpr11
; %bb.129:                              ;   in Loop: Header=BB4_107 Depth=1
	v_and_b32_e32 v10, 7, v8
; %bb.130:                              ;   in Loop: Header=BB4_107 Depth=1
	s_and_not1_saveexec_b32 s16, s16
	s_cbranch_execz .LBB4_132
; %bb.131:                              ;   in Loop: Header=BB4_107 Depth=1
	v_and_b32_e32 v10, 7, v8
	v_ashrrev_i32_e32 v39, 31, v38
	s_delay_alu instid0(VALU_DEP_2)
	v_mad_u64_u32 v[11:12], null, v10, 24, v[6:7]
	flat_store_b64 v[11:12], v[38:39] offset:8
.LBB4_132:                              ;   in Loop: Header=BB4_107 Depth=1
	s_or_b32 exec_lo, exec_lo, s16
	v_and_b32_e32 v1, 0x100, v50
	s_mov_b32 s16, -1
	s_mov_b32 s18, exec_lo
                                        ; implicit-def: $vgpr11_vgpr12
	s_delay_alu instid0(VALU_DEP_1)
	v_cmpx_ne_u32_e32 0, v1
	s_cbranch_execnz .LBB4_135
; %bb.133:                              ;   in Loop: Header=BB4_107 Depth=1
	s_or_b32 exec_lo, exec_lo, s18
	s_and_saveexec_b32 s18, s16
	s_cbranch_execnz .LBB4_138
.LBB4_134:                              ;   in Loop: Header=BB4_107 Depth=1
	s_or_b32 exec_lo, exec_lo, s18
	s_cbranch_execnz .LBB4_1183
	s_branch .LBB4_139
.LBB4_135:                              ;   in Loop: Header=BB4_107 Depth=1
	v_mad_u64_u32 v[48:49], null, v10, 24, v[6:7]
	s_mov_b32 s19, exec_lo
	s_delay_alu instid0(VALU_DEP_1) | instskip(NEXT) | instid1(VALU_DEP_1)
	v_mov_b32_e32 v1, v49
	v_mad_u64_u32 v[11:12], null, v2, 24, v[1:2]
	s_delay_alu instid0(VALU_DEP_1)
	v_mov_b32_e32 v49, v11
                                        ; implicit-def: $vgpr11_vgpr12
	flat_load_b32 v1, v[48:49]
	s_waitcnt vmcnt(0) lgkmcnt(0)
	v_cmp_ne_u32_e32 vcc_lo, 1, v1
	v_cmpx_eq_u32_e32 1, v1
	s_cbranch_execz .LBB4_137
; %bb.136:                              ;   in Loop: Header=BB4_107 Depth=1
	flat_load_b32 v11, v[48:49] offset:4 glc
	s_waitcnt vmcnt(0) lgkmcnt(0)
	v_ashrrev_i32_e32 v12, 31, v11
.LBB4_137:                              ;   in Loop: Header=BB4_107 Depth=1
	s_or_b32 exec_lo, exec_lo, s19
	s_delay_alu instid0(SALU_CYCLE_1)
	s_or_not1_b32 s16, vcc_lo, exec_lo
	s_or_b32 exec_lo, exec_lo, s18
	s_and_saveexec_b32 s18, s16
	s_cbranch_execz .LBB4_134
.LBB4_138:                              ;   in Loop: Header=BB4_107 Depth=1
	v_mul_lo_u32 v1, v2, v51
	v_mul_lo_u32 v13, v10, v53
	v_mad_u64_u32 v[11:12], null, v10, v51, 0
	s_delay_alu instid0(VALU_DEP_1)
	v_add3_u32 v12, v12, v13, v1
	s_or_b32 exec_lo, exec_lo, s18
	s_cbranch_execnz .LBB4_1183
.LBB4_139:                              ;   in Loop: Header=BB4_107 Depth=1
	s_delay_alu instid0(VALU_DEP_2)
	v_add_co_u32 v10, vcc_lo, v22, v11
	v_and_b32_e32 v1, 0x2000, v50
	v_add_co_ci_u32_e32 v11, vcc_lo, v23, v12, vcc_lo
	s_mov_b32 s16, exec_lo
	ds_store_b64 v0, v[10:11]
	v_cmpx_ne_u32_e32 0, v1
	s_cbranch_execz .LBB4_141
; %bb.140:                              ;   in Loop: Header=BB4_107 Depth=1
	ds_load_b64 v[10:11], v0 offset:584
	s_waitcnt lgkmcnt(0)
	v_add_co_u32 v10, vcc_lo, v10, 1
	v_add_co_ci_u32_e32 v11, vcc_lo, 0, v11, vcc_lo
	ds_store_b64 v0, v[10:11] offset:584
.LBB4_141:                              ;   in Loop: Header=BB4_107 Depth=1
	s_or_b32 exec_lo, exec_lo, s16
	v_add_co_u32 v8, vcc_lo, v8, 1
	v_add_co_ci_u32_e32 v9, vcc_lo, 0, v9, vcc_lo
.LBB4_142:                              ;   in Loop: Header=BB4_107 Depth=1
	s_or_b32 exec_lo, exec_lo, s17
	s_and_saveexec_b32 s16, s3
	s_cbranch_execz .LBB4_164
; %bb.143:                              ;   in Loop: Header=BB4_107 Depth=1
	s_and_saveexec_b32 s17, s4
	s_delay_alu instid0(SALU_CYCLE_1)
	s_xor_b32 s17, exec_lo, s17
	s_cbranch_execz .LBB4_161
; %bb.144:                              ;   in Loop: Header=BB4_107 Depth=1
	s_and_saveexec_b32 s18, s5
	s_cbranch_execz .LBB4_160
; %bb.145:                              ;   in Loop: Header=BB4_107 Depth=1
	s_mov_b32 s30, exec_lo
	s_mov_b32 s19, exec_lo
	v_mbcnt_lo_u32_b32 v1, s30, 0
	s_waitcnt lgkmcnt(0)
	s_waitcnt_vscnt null, 0x0
	buffer_gl1_inv
	buffer_gl0_inv
	v_cmpx_eq_u32_e32 0, v1
	s_cbranch_execz .LBB4_147
; %bb.146:                              ;   in Loop: Header=BB4_107 Depth=1
	s_bcnt1_i32_b32 vcc_lo, s30
	s_delay_alu instid0(SALU_CYCLE_1)
	v_mov_b32_e32 v1, vcc_lo
	ds_add_u64 v0, v[1:2]
	s_cbranch_execnz .LBB4_1304
.LBB4_147:                              ;   in Loop: Header=BB4_107 Depth=1
	s_or_b32 exec_lo, exec_lo, s19
	s_cbranch_execnz .LBB4_1284
; %bb.148:                              ;   in Loop: Header=BB4_107 Depth=1
	ds_load_b64 v[10:11], v0
	v_add_co_u32 v26, vcc_lo, v26, v54
	v_add_co_ci_u32_e32 v27, vcc_lo, 0, v27, vcc_lo
	s_mov_b32 s19, exec_lo
	s_waitcnt lgkmcnt(0)
	s_delay_alu instid0(VALU_DEP_1)
	v_cmpx_lt_u64_e64 v[10:11], v[26:27]
	s_cbranch_execz .LBB4_159
; %bb.149:                              ;   in Loop: Header=BB4_107 Depth=1
	s_mov_b32 s30, 0
	s_mov_b32 s35, 0
                                        ; implicit-def: $sgpr31
                                        ; implicit-def: $sgpr34
	s_branch .LBB4_151
.LBB4_150:                              ;   in Loop: Header=BB4_151 Depth=2
	s_or_b32 exec_lo, exec_lo, s37
	s_delay_alu instid0(SALU_CYCLE_1) | instskip(NEXT) | instid1(SALU_CYCLE_1)
	s_and_b32 vcc_lo, exec_lo, vcc_lo
	s_or_b32 s30, vcc_lo, s30
	s_and_not1_b32 vcc_lo, s31, exec_lo
	s_and_b32 s31, s34, exec_lo
	s_delay_alu instid0(SALU_CYCLE_1)
	s_or_b32 s31, vcc_lo, s31
	s_and_not1_b32 exec_lo, exec_lo, s30
	s_cbranch_execz .LBB4_157
.LBB4_151:                              ;   Parent Loop BB4_107 Depth=1
                                        ; =>  This Inner Loop Header: Depth=2
	s_add_i32 s35, s35, 1
                                        ; implicit-def: $sgpr37
	s_delay_alu instid0(SALU_CYCLE_1) | instskip(SKIP_1) | instid1(SALU_CYCLE_1)
	s_cmpk_lg_i32 s35, 0x2710
	s_cselect_b32 s36, -1, 0
	s_and_b32 vcc_lo, exec_lo, s36
	s_cbranch_vccz .LBB4_155
.LBB4_152:                              ;   in Loop: Header=BB4_151 Depth=2
	s_and_not1_b32 s34, s34, exec_lo
	s_and_b32 s37, s37, exec_lo
	s_mov_b32 vcc_lo, -1
	s_or_b32 s34, s34, s37
	s_and_saveexec_b32 s37, s36
	s_cbranch_execz .LBB4_150
; %bb.153:                              ;   in Loop: Header=BB4_151 Depth=2
	s_sleep 1
	s_cbranch_execnz .LBB4_1356
; %bb.154:                              ;   in Loop: Header=BB4_151 Depth=2
	ds_load_b64 v[10:11], v0
	s_and_not1_b32 s34, s34, exec_lo
	s_waitcnt lgkmcnt(0)
	v_cmp_ge_u64_e32 vcc_lo, v[10:11], v[26:27]
	s_or_not1_b32 vcc_lo, vcc_lo, exec_lo
	s_branch .LBB4_150
.LBB4_155:                              ;   in Loop: Header=BB4_151 Depth=2
	s_cbranch_execnz .LBB4_1364
; %bb.156:                              ;   in Loop: Header=BB4_151 Depth=2
	ds_load_b64 v[10:11], v0
	s_and_not1_b32 s36, s36, exec_lo
	s_mov_b32 s35, 0
	s_mov_b32 s37, -1
	s_waitcnt lgkmcnt(0)
	flat_load_b32 v1, v[10:11] glc
	s_waitcnt vmcnt(0) lgkmcnt(0)
	buffer_gl1_inv
	buffer_gl0_inv
	v_cmp_eq_u32_e32 vcc_lo, 0, v1
	s_and_b32 vcc_lo, vcc_lo, exec_lo
	s_delay_alu instid0(SALU_CYCLE_1)
	s_or_b32 s36, s36, vcc_lo
	s_branch .LBB4_152
.LBB4_157:                              ;   in Loop: Header=BB4_107 Depth=1
	s_or_b32 exec_lo, exec_lo, s30
	s_and_saveexec_b32 vcc_lo, s31
	s_delay_alu instid0(SALU_CYCLE_1)
	s_xor_b32 vcc_lo, exec_lo, vcc_lo
	s_cbranch_execz .LBB4_159
; %bb.158:                              ;   in Loop: Header=BB4_107 Depth=1
	ds_store_b32 v0, v98
	s_cbranch_execnz .LBB4_1547
.LBB4_159:                              ;   in Loop: Header=BB4_107 Depth=1
	s_or_b32 exec_lo, exec_lo, s19
	;;#ASMSTART
	s_wakeup
	;;#ASMEND
.LBB4_160:                              ;   in Loop: Header=BB4_107 Depth=1
	s_or_b32 exec_lo, exec_lo, s18
.LBB4_161:                              ;   in Loop: Header=BB4_107 Depth=1
	s_and_not1_saveexec_b32 s17, s17
	s_cbranch_execz .LBB4_163
; %bb.162:                              ;   in Loop: Header=BB4_107 Depth=1
	s_waitcnt lgkmcnt(0)
	s_waitcnt_vscnt null, 0x0
	buffer_gl1_inv
	buffer_gl0_inv
	s_barrier
.LBB4_163:                              ;   in Loop: Header=BB4_107 Depth=1
	s_or_b32 exec_lo, exec_lo, s17
.LBB4_164:                              ;   in Loop: Header=BB4_107 Depth=1
	s_delay_alu instid0(SALU_CYCLE_1)
	s_or_b32 exec_lo, exec_lo, s16
	s_cbranch_execnz .LBB4_1173
; %bb.165:                              ;   in Loop: Header=BB4_107 Depth=1
	ds_load_b32 v10, v0
	v_and_b32_e32 v1, 0x4000, v50
	s_delay_alu instid0(VALU_DEP_1) | instskip(SKIP_1) | instid1(SALU_CYCLE_1)
	v_cmp_ne_u32_e32 vcc_lo, 0, v1
	s_and_b32 s17, s27, vcc_lo
	s_and_saveexec_b32 s16, s17
	s_cbranch_execz .LBB4_187
; %bb.166:                              ;   in Loop: Header=BB4_107 Depth=1
	s_and_saveexec_b32 s17, s4
	s_delay_alu instid0(SALU_CYCLE_1)
	s_xor_b32 s17, exec_lo, s17
	s_cbranch_execz .LBB4_184
; %bb.167:                              ;   in Loop: Header=BB4_107 Depth=1
	s_and_saveexec_b32 s18, s5
	s_cbranch_execz .LBB4_183
; %bb.168:                              ;   in Loop: Header=BB4_107 Depth=1
	s_mov_b32 s30, exec_lo
	s_mov_b32 s19, exec_lo
	v_mbcnt_lo_u32_b32 v1, s30, 0
	s_waitcnt lgkmcnt(0)
	s_waitcnt_vscnt null, 0x0
	buffer_gl1_inv
	buffer_gl0_inv
	v_cmpx_eq_u32_e32 0, v1
	s_cbranch_execz .LBB4_170
; %bb.169:                              ;   in Loop: Header=BB4_107 Depth=1
	s_bcnt1_i32_b32 vcc_lo, s30
	s_delay_alu instid0(SALU_CYCLE_1)
	v_mov_b32_e32 v1, vcc_lo
	ds_add_u64 v0, v[1:2]
	s_cbranch_execnz .LBB4_1346
.LBB4_170:                              ;   in Loop: Header=BB4_107 Depth=1
	s_or_b32 exec_lo, exec_lo, s19
	s_cbranch_execnz .LBB4_1326
; %bb.171:                              ;   in Loop: Header=BB4_107 Depth=1
	ds_load_b64 v[11:12], v0
	v_add_co_u32 v26, vcc_lo, v26, v54
	v_add_co_ci_u32_e32 v27, vcc_lo, 0, v27, vcc_lo
	s_mov_b32 s19, exec_lo
	s_waitcnt lgkmcnt(0)
	s_delay_alu instid0(VALU_DEP_1)
	v_cmpx_lt_u64_e64 v[11:12], v[26:27]
	s_cbranch_execz .LBB4_182
; %bb.172:                              ;   in Loop: Header=BB4_107 Depth=1
	s_mov_b32 s30, 0
	s_mov_b32 s35, 0
                                        ; implicit-def: $sgpr31
                                        ; implicit-def: $sgpr34
	s_branch .LBB4_174
.LBB4_173:                              ;   in Loop: Header=BB4_174 Depth=2
	s_or_b32 exec_lo, exec_lo, s37
	s_delay_alu instid0(SALU_CYCLE_1) | instskip(NEXT) | instid1(SALU_CYCLE_1)
	s_and_b32 vcc_lo, exec_lo, vcc_lo
	s_or_b32 s30, vcc_lo, s30
	s_and_not1_b32 vcc_lo, s31, exec_lo
	s_and_b32 s31, s34, exec_lo
	s_delay_alu instid0(SALU_CYCLE_1)
	s_or_b32 s31, vcc_lo, s31
	s_and_not1_b32 exec_lo, exec_lo, s30
	s_cbranch_execz .LBB4_180
.LBB4_174:                              ;   Parent Loop BB4_107 Depth=1
                                        ; =>  This Inner Loop Header: Depth=2
	s_add_i32 s35, s35, 1
                                        ; implicit-def: $sgpr37
	s_delay_alu instid0(SALU_CYCLE_1) | instskip(SKIP_1) | instid1(SALU_CYCLE_1)
	s_cmpk_lg_i32 s35, 0x2710
	s_cselect_b32 s36, -1, 0
	s_and_b32 vcc_lo, exec_lo, s36
	s_cbranch_vccz .LBB4_178
.LBB4_175:                              ;   in Loop: Header=BB4_174 Depth=2
	s_and_not1_b32 s34, s34, exec_lo
	s_and_b32 s37, s37, exec_lo
	s_mov_b32 vcc_lo, -1
	s_or_b32 s34, s34, s37
	s_and_saveexec_b32 s37, s36
	s_cbranch_execz .LBB4_173
; %bb.176:                              ;   in Loop: Header=BB4_174 Depth=2
	s_sleep 1
	s_cbranch_execnz .LBB4_1414
; %bb.177:                              ;   in Loop: Header=BB4_174 Depth=2
	ds_load_b64 v[11:12], v0
	s_and_not1_b32 s34, s34, exec_lo
	s_waitcnt lgkmcnt(0)
	v_cmp_ge_u64_e32 vcc_lo, v[11:12], v[26:27]
	s_or_not1_b32 vcc_lo, vcc_lo, exec_lo
	s_branch .LBB4_173
.LBB4_178:                              ;   in Loop: Header=BB4_174 Depth=2
	s_cbranch_execnz .LBB4_1445
; %bb.179:                              ;   in Loop: Header=BB4_174 Depth=2
	ds_load_b64 v[11:12], v0
	s_and_not1_b32 s36, s36, exec_lo
	s_mov_b32 s35, 0
	s_mov_b32 s37, -1
	s_waitcnt lgkmcnt(0)
	flat_load_b32 v1, v[11:12] glc
	s_waitcnt vmcnt(0) lgkmcnt(0)
	buffer_gl1_inv
	buffer_gl0_inv
	v_cmp_eq_u32_e32 vcc_lo, 0, v1
	s_and_b32 vcc_lo, vcc_lo, exec_lo
	s_delay_alu instid0(SALU_CYCLE_1)
	s_or_b32 s36, s36, vcc_lo
	s_branch .LBB4_175
.LBB4_180:                              ;   in Loop: Header=BB4_107 Depth=1
	s_or_b32 exec_lo, exec_lo, s30
	s_and_saveexec_b32 vcc_lo, s31
	s_delay_alu instid0(SALU_CYCLE_1)
	s_xor_b32 vcc_lo, exec_lo, vcc_lo
	s_cbranch_execz .LBB4_182
; %bb.181:                              ;   in Loop: Header=BB4_107 Depth=1
	ds_store_b32 v0, v98
	s_cbranch_execnz .LBB4_1567
.LBB4_182:                              ;   in Loop: Header=BB4_107 Depth=1
	s_or_b32 exec_lo, exec_lo, s19
	;;#ASMSTART
	s_wakeup
	;;#ASMEND
.LBB4_183:                              ;   in Loop: Header=BB4_107 Depth=1
	s_or_b32 exec_lo, exec_lo, s18
.LBB4_184:                              ;   in Loop: Header=BB4_107 Depth=1
	s_and_not1_saveexec_b32 s17, s17
	s_cbranch_execz .LBB4_186
; %bb.185:                              ;   in Loop: Header=BB4_107 Depth=1
	s_waitcnt lgkmcnt(0)
	s_waitcnt_vscnt null, 0x0
	buffer_gl1_inv
	buffer_gl0_inv
	s_barrier
.LBB4_186:                              ;   in Loop: Header=BB4_107 Depth=1
	s_or_b32 exec_lo, exec_lo, s17
.LBB4_187:                              ;   in Loop: Header=BB4_107 Depth=1
	s_delay_alu instid0(SALU_CYCLE_1)
	s_or_b32 exec_lo, exec_lo, s16
	s_cbranch_execnz .LBB4_1233
; %bb.188:                              ;   in Loop: Header=BB4_107 Depth=1
	ds_load_b64 v[11:12], v0
	s_waitcnt lgkmcnt(0)
	v_cmp_eq_u64_e32 vcc_lo, 0, v[11:12]
	s_or_b32 s16, vcc_lo, vcc_lo
	s_delay_alu instid0(SALU_CYCLE_1)
	s_and_b32 vcc_lo, exec_lo, s16
	s_mov_b32 s16, 0
	s_cbranch_vccnz .LBB4_264
; %bb.189:                              ;   in Loop: Header=BB4_107 Depth=1
	v_cmp_eq_u32_e32 vcc_lo, 0, v10
	s_cbranch_execnz .LBB4_1278
; %bb.190:                              ;   in Loop: Header=BB4_107 Depth=1
	ds_load_b64 v[10:11], v0
	v_cndmask_b32_e32 v1, 0, v38, vcc_lo
	s_waitcnt lgkmcnt(0)
	v_cmp_ne_u64_e64 s16, 0, v[10:11]
	s_delay_alu instid0(VALU_DEP_1)
	s_and_b32 vcc_lo, exec_lo, s16
	s_cbranch_vccz .LBB4_229
; %bb.191:                              ;   in Loop: Header=BB4_107 Depth=1
	s_mov_b32 s16, -1
	s_and_saveexec_b32 s17, s6
	s_cbranch_execz .LBB4_193
; %bb.192:                              ;   in Loop: Header=BB4_107 Depth=1
	ds_load_b32 v10, v0 offset:720
	s_waitcnt lgkmcnt(0)
	v_and_b32_e32 v10, 15, v10
	s_delay_alu instid0(VALU_DEP_1)
	v_cmp_eq_u32_e32 vcc_lo, 0, v10
	s_or_not1_b32 s16, vcc_lo, exec_lo
.LBB4_193:                              ;   in Loop: Header=BB4_107 Depth=1
	s_or_b32 exec_lo, exec_lo, s17
	s_and_saveexec_b32 s17, s7
	s_cbranch_execz .LBB4_195
; %bb.194:                              ;   in Loop: Header=BB4_107 Depth=1
	ds_load_b32 v10, v0 offset:784
	s_waitcnt lgkmcnt(0)
	v_and_b32_e32 v10, 15, v10
	s_delay_alu instid0(VALU_DEP_1) | instskip(SKIP_3) | instid1(SALU_CYCLE_1)
	v_cmp_eq_u32_e32 vcc_lo, 0, v10
	s_and_b32 s18, s16, vcc_lo
	s_and_not1_b32 s16, s16, exec_lo
	s_and_b32 s18, s18, exec_lo
	s_or_b32 s16, s16, s18
.LBB4_195:                              ;   in Loop: Header=BB4_107 Depth=1
	s_or_b32 exec_lo, exec_lo, s17
	s_xor_b32 s16, s16, -1
	v_dual_mov_b32 v39, 0 :: v_dual_mov_b32 v100, v1
	v_cndmask_b32_e64 v10, 0, 1, s16
	;;#ASMSTART
	;;#ASMEND
	s_delay_alu instid0(VALU_DEP_1)
	v_cmp_ne_u32_e32 vcc_lo, 0, v10
	v_mov_b32_e32 v101, v0
	v_mov_b32_e32 v10, v68
	s_mov_b32 s17, -1
	s_cbranch_vccnz .LBB4_215
; %bb.196:                              ;   in Loop: Header=BB4_107 Depth=1
	v_ashrrev_i32_e32 v10, 31, v1
	v_sub_nc_u32_e32 v39, v1, v55
	s_mov_b32 s30, exec_lo
	s_delay_alu instid0(VALU_DEP_2) | instskip(NEXT) | instid1(VALU_DEP_1)
	v_lshrrev_b32_e32 v10, 23, v10
	v_add_nc_u32_e32 v10, v1, v10
	s_delay_alu instid0(VALU_DEP_1) | instskip(SKIP_1) | instid1(VALU_DEP_2)
	v_and_b32_e32 v102, 0xfffffe00, v10
	v_ashrrev_i32_e32 v10, 9, v10
	v_sub_nc_u32_e32 v112, v1, v102
	s_delay_alu instid0(VALU_DEP_1) | instskip(NEXT) | instid1(VALU_DEP_1)
	v_cmp_lt_i32_e64 s16, 15, v112
	v_add_co_ci_u32_e64 v113, vcc_lo, v10, v71, s16
	v_cmpx_lt_i32_e32 15, v39
	s_cbranch_execz .LBB4_203
; %bb.197:                              ;   in Loop: Header=BB4_107 Depth=1
	s_cbranch_execnz .LBB4_1481
; %bb.198:                              ;   in Loop: Header=BB4_107 Depth=1
	ds_load_b64 v[48:49], v0
	ds_load_b128 v[10:13], v0
	s_mov_b32 s31, 0
	s_waitcnt lgkmcnt(1)
	v_add_co_u32 v48, vcc_lo, v48, v55
	v_add_co_ci_u32_e32 v49, vcc_lo, v49, v66, vcc_lo
	s_waitcnt lgkmcnt(0)
	v_add_co_u32 v100, vcc_lo, v10, v55
	v_add_co_ci_u32_e32 v101, vcc_lo, v11, v66, vcc_lo
	v_add_co_u32 v103, vcc_lo, v12, v55
	v_add_co_ci_u32_e32 v114, vcc_lo, v13, v66, vcc_lo
.LBB4_199:                              ;   Parent Loop BB4_107 Depth=1
                                        ; =>  This Loop Header: Depth=2
                                        ;       Child Loop BB4_200 Depth 3
	global_load_b128 v[10:13], v[48:49], off slc dlc
	s_mov_b64 s[18:19], 0
	s_mov_b32 s17, -1
.LBB4_200:                              ;   Parent Loop BB4_107 Depth=1
                                        ;     Parent Loop BB4_199 Depth=2
                                        ; =>    This Inner Loop Header: Depth=3
	s_cmp_eq_u32 s18, 0
	v_cndmask_b32_e64 v117, 0, 1, s17
	s_cselect_b32 vcc_lo, -1, 0
	s_cmp_eq_u32 s18, 1
	s_cselect_b32 s17, -1, 0
	s_delay_alu instid0(SALU_CYCLE_1) | instskip(SKIP_1) | instid1(VALU_DEP_2)
	v_cndmask_b32_e64 v115, v100, v103, s17
	v_cndmask_b32_e64 v116, v101, v114, s17
	v_add_co_u32 v118, s18, 0x200, v115
	s_delay_alu instid0(VALU_DEP_1) | instskip(SKIP_1) | instid1(VALU_DEP_3)
	v_add_co_ci_u32_e64 v119, s18, 0, v116, s18
	v_cmp_ne_u32_e64 s18, 1, v117
	v_cndmask_b32_e64 v103, v103, v118, s17
	v_cndmask_b32_e32 v100, v100, v118, vcc_lo
	s_delay_alu instid0(VALU_DEP_4)
	v_cndmask_b32_e64 v114, v114, v119, s17
	v_cndmask_b32_e32 v101, v101, v119, vcc_lo
	s_mov_b32 s17, 0
	s_and_b32 vcc_lo, exec_lo, s18
	s_mov_b64 s[18:19], 1
	s_waitcnt vmcnt(0)
	global_store_b128 v[115:116], v[10:13], off glc slc dlc
	s_cbranch_vccz .LBB4_200
; %bb.201:                              ;   in Loop: Header=BB4_199 Depth=2
	v_add_co_u32 v100, vcc_lo, v100, v67
	v_sub_nc_u32_e32 v39, v39, v65
	v_add_co_ci_u32_e32 v101, vcc_lo, v101, v70, vcc_lo
	v_add_co_u32 v103, vcc_lo, v103, v67
	v_add_co_ci_u32_e32 v114, vcc_lo, v114, v70, vcc_lo
	s_delay_alu instid0(VALU_DEP_4) | instskip(SKIP_1) | instid1(VALU_DEP_1)
	v_cmp_gt_i32_e32 vcc_lo, 16, v39
	v_add_co_u32 v48, s17, v80, v48
	v_add_co_ci_u32_e64 v49, s17, v81, v49, s17
	v_sub_nc_u32_e32 v113, v113, v54
	s_or_b32 s31, vcc_lo, s31
	s_delay_alu instid0(SALU_CYCLE_1)
	s_and_not1_b32 exec_lo, exec_lo, s31
	s_cbranch_execnz .LBB4_199
; %bb.202:                              ;   in Loop: Header=BB4_107 Depth=1
	s_or_b32 exec_lo, exec_lo, s31
.LBB4_203:                              ;   in Loop: Header=BB4_107 Depth=1
	s_delay_alu instid0(SALU_CYCLE_1) | instskip(SKIP_4) | instid1(VALU_DEP_2)
	s_or_b32 exec_lo, exec_lo, s30
	v_and_b32_e32 v11, 15, v1
	v_mov_b32_e32 v39, 0
	s_mov_b32 s17, 0
	s_mov_b32 s30, exec_lo
                                        ; implicit-def: $vgpr100
                                        ; implicit-def: $vgpr101
                                        ; implicit-def: $vgpr10
	v_cndmask_b32_e64 v103, v112, v11, s16
	s_delay_alu instid0(VALU_DEP_1)
	v_cmpx_ne_u32_e32 0, v103
	s_cbranch_execz .LBB4_214
; %bb.204:                              ;   in Loop: Header=BB4_107 Depth=1
	v_cmp_lt_i32_e32 vcc_lo, 0, v113
	v_ashrrev_i32_e32 v13, 31, v103
	v_sub_nc_u32_e32 v11, v112, v11
	s_mov_b32 s31, exec_lo
	v_cndmask_b32_e32 v10, 0, v54, vcc_lo
	s_delay_alu instid0(VALU_DEP_3) | instskip(NEXT) | instid1(VALU_DEP_3)
	v_lshrrev_b32_e32 v13, 23, v13
	v_cndmask_b32_e64 v11, 0, v11, s16
	s_delay_alu instid0(VALU_DEP_3) | instskip(NEXT) | instid1(VALU_DEP_3)
	v_sub_nc_u32_e32 v10, v10, v113
	v_add_nc_u32_e32 v13, v103, v13
	s_delay_alu instid0(VALU_DEP_3) | instskip(NEXT) | instid1(VALU_DEP_3)
	v_add_nc_u32_e32 v102, v11, v102
	v_lshl_add_u32 v10, v10, 5, v69
	s_delay_alu instid0(VALU_DEP_3) | instskip(SKIP_1) | instid1(VALU_DEP_3)
	v_and_b32_e32 v113, 0xfffffe00, v13
	v_ashrrev_i32_e32 v13, 9, v13
	v_ashrrev_i32_e32 v12, 31, v10
	s_delay_alu instid0(VALU_DEP_3) | instskip(NEXT) | instid1(VALU_DEP_2)
	v_sub_nc_u32_e32 v112, v103, v113
	v_lshrrev_b32_e32 v12, 27, v12
	s_delay_alu instid0(VALU_DEP_2) | instskip(NEXT) | instid1(VALU_DEP_2)
	v_cmp_lt_i32_e64 s16, 15, v112
	v_add_nc_u32_e32 v12, v10, v12
	s_delay_alu instid0(VALU_DEP_2) | instskip(NEXT) | instid1(VALU_DEP_2)
	v_add_co_ci_u32_e64 v13, vcc_lo, 0, v13, s16
	v_and_b32_e32 v39, 0xffffffe0, v12
	v_ashrrev_i32_e32 v12, 5, v12
	s_delay_alu instid0(VALU_DEP_2) | instskip(NEXT) | instid1(VALU_DEP_2)
	v_sub_nc_u32_e32 v114, v10, v39
	v_sub_nc_u32_e32 v115, v13, v12
	s_delay_alu instid0(VALU_DEP_2) | instskip(NEXT) | instid1(VALU_DEP_1)
	v_lshlrev_b32_e32 v10, 4, v114
	v_lshl_add_u32 v10, v12, 9, v10
	s_delay_alu instid0(VALU_DEP_1) | instskip(NEXT) | instid1(VALU_DEP_1)
	v_sub_nc_u32_e32 v39, v103, v10
	v_cmpx_lt_i32_e32 15, v39
	s_cbranch_execz .LBB4_211
; %bb.205:                              ;   in Loop: Header=BB4_107 Depth=1
	s_cbranch_execnz .LBB4_1533
; %bb.206:                              ;   in Loop: Header=BB4_107 Depth=1
	ds_load_b64 v[11:12], v0
	ds_load_b128 v[116:119], v0
	v_add_nc_u32_e32 v10, v10, v102
	s_mov_b32 s34, 0
	s_delay_alu instid0(VALU_DEP_1) | instskip(SKIP_2) | instid1(VALU_DEP_2)
	v_ashrrev_i32_e32 v13, 31, v10
	s_waitcnt lgkmcnt(1)
	v_add_co_u32 v48, vcc_lo, v11, v10
	v_add_co_ci_u32_e32 v49, vcc_lo, v12, v13, vcc_lo
	s_waitcnt lgkmcnt(0)
	v_add_co_u32 v100, vcc_lo, v116, v10
	v_add_co_ci_u32_e32 v101, vcc_lo, v117, v13, vcc_lo
	v_add_co_u32 v116, vcc_lo, v118, v10
	v_add_co_ci_u32_e32 v117, vcc_lo, v119, v13, vcc_lo
.LBB4_207:                              ;   Parent Loop BB4_107 Depth=1
                                        ; =>  This Loop Header: Depth=2
                                        ;       Child Loop BB4_208 Depth 3
	global_load_b128 v[10:13], v[48:49], off slc dlc
	s_mov_b64 s[18:19], 0
	s_mov_b32 s17, -1
.LBB4_208:                              ;   Parent Loop BB4_107 Depth=1
                                        ;     Parent Loop BB4_207 Depth=2
                                        ; =>    This Inner Loop Header: Depth=3
	s_cmp_eq_u32 s18, 0
	v_cndmask_b32_e64 v128, 0, 1, s17
	s_cselect_b32 vcc_lo, -1, 0
	s_cmp_eq_u32 s18, 1
	s_cselect_b32 s17, -1, 0
	s_delay_alu instid0(SALU_CYCLE_1) | instskip(SKIP_1) | instid1(VALU_DEP_2)
	v_cndmask_b32_e64 v118, v100, v116, s17
	v_cndmask_b32_e64 v119, v101, v117, s17
	v_add_co_u32 v129, s18, 0x200, v118
	s_delay_alu instid0(VALU_DEP_1) | instskip(SKIP_1) | instid1(VALU_DEP_3)
	v_add_co_ci_u32_e64 v130, s18, 0, v119, s18
	v_cmp_ne_u32_e64 s18, 1, v128
	v_cndmask_b32_e64 v116, v116, v129, s17
	v_cndmask_b32_e32 v100, v100, v129, vcc_lo
	s_delay_alu instid0(VALU_DEP_4)
	v_cndmask_b32_e64 v117, v117, v130, s17
	v_cndmask_b32_e32 v101, v101, v130, vcc_lo
	s_mov_b32 s17, 0
	s_and_b32 vcc_lo, exec_lo, s18
	s_mov_b64 s[18:19], 1
	s_waitcnt vmcnt(0)
	global_store_b128 v[118:119], v[10:13], off glc slc dlc
	s_cbranch_vccz .LBB4_208
; %bb.209:                              ;   in Loop: Header=BB4_207 Depth=2
	v_add_co_u32 v100, vcc_lo, v100, v67
	v_sub_nc_u32_e32 v39, v39, v65
	v_add_co_ci_u32_e32 v101, vcc_lo, v101, v70, vcc_lo
	v_add_co_u32 v116, vcc_lo, v116, v67
	v_add_co_ci_u32_e32 v117, vcc_lo, v117, v70, vcc_lo
	s_delay_alu instid0(VALU_DEP_4) | instskip(SKIP_1) | instid1(VALU_DEP_1)
	v_cmp_gt_i32_e32 vcc_lo, 16, v39
	v_add_co_u32 v48, s17, v80, v48
	v_add_co_ci_u32_e64 v49, s17, v81, v49, s17
	v_sub_nc_u32_e32 v115, v115, v54
	s_or_b32 s34, vcc_lo, s34
	s_delay_alu instid0(SALU_CYCLE_1)
	s_and_not1_b32 exec_lo, exec_lo, s34
	s_cbranch_execnz .LBB4_207
; %bb.210:                              ;   in Loop: Header=BB4_107 Depth=1
	s_or_b32 exec_lo, exec_lo, s34
.LBB4_211:                              ;   in Loop: Header=BB4_107 Depth=1
	s_delay_alu instid0(SALU_CYCLE_1) | instskip(SKIP_4) | instid1(VALU_DEP_2)
	s_or_b32 exec_lo, exec_lo, s31
	v_and_b32_e32 v11, 15, v103
	v_mov_b32_e32 v39, 0
	s_mov_b32 s17, 0
	s_mov_b32 s18, exec_lo
                                        ; implicit-def: $vgpr101
                                        ; implicit-def: $vgpr10
	v_cndmask_b32_e64 v100, v112, v11, s16
	s_delay_alu instid0(VALU_DEP_1)
	v_cmpx_ne_u32_e32 0, v100
	s_cbranch_execz .LBB4_213
; %bb.212:                              ;   in Loop: Header=BB4_107 Depth=1
	v_cmp_lt_i32_e32 vcc_lo, 0, v115
	v_sub_nc_u32_e32 v11, v112, v11
	s_mov_b32 s17, exec_lo
	v_cndmask_b32_e32 v10, 0, v54, vcc_lo
	s_delay_alu instid0(VALU_DEP_2) | instskip(NEXT) | instid1(VALU_DEP_2)
	v_cndmask_b32_e64 v11, 0, v11, s16
	v_sub_nc_u32_e32 v10, v10, v115
	s_delay_alu instid0(VALU_DEP_2) | instskip(NEXT) | instid1(VALU_DEP_2)
	v_add3_u32 v39, v113, v102, v11
	v_lshl_add_u32 v101, v10, 5, v114
	s_delay_alu instid0(VALU_DEP_1) | instskip(NEXT) | instid1(VALU_DEP_1)
	v_ashrrev_i32_e32 v10, 31, v101
	v_lshrrev_b32_e32 v10, 27, v10
	s_delay_alu instid0(VALU_DEP_1) | instskip(NEXT) | instid1(VALU_DEP_1)
	v_add_nc_u32_e32 v10, v101, v10
	v_ashrrev_i32_e32 v10, 5, v10
.LBB4_213:                              ;   in Loop: Header=BB4_107 Depth=1
	s_or_b32 exec_lo, exec_lo, s18
	s_delay_alu instid0(SALU_CYCLE_1)
	s_and_b32 s17, s17, exec_lo
.LBB4_214:                              ;   in Loop: Header=BB4_107 Depth=1
	s_or_b32 exec_lo, exec_lo, s30
.LBB4_215:                              ;   in Loop: Header=BB4_107 Depth=1
	s_and_saveexec_b32 s30, s17
	s_cbranch_execz .LBB4_228
; %bb.216:                              ;   in Loop: Header=BB4_107 Depth=1
	v_ashrrev_i32_e32 v11, 31, v100
	s_mov_b32 s17, exec_lo
	s_delay_alu instid0(VALU_DEP_1) | instskip(NEXT) | instid1(VALU_DEP_1)
	v_lshrrev_b32_e32 v11, 24, v11
	v_add_nc_u32_e32 v11, v100, v11
	s_delay_alu instid0(VALU_DEP_1) | instskip(NEXT) | instid1(VALU_DEP_1)
	v_ashrrev_i32_e32 v103, 8, v11
	v_sub_nc_u32_e32 v102, v103, v10
	s_delay_alu instid0(VALU_DEP_1)
	v_cmpx_lt_i32_e32 0, v102
	s_cbranch_execz .LBB4_221
; %bb.217:                              ;   in Loop: Header=BB4_107 Depth=1
	s_cbranch_execnz .LBB4_1471
; %bb.218:                              ;   in Loop: Header=BB4_107 Depth=1
	v_ashrrev_i32_e32 v11, 31, v101
	v_lshlrev_b32_e32 v10, 8, v10
	s_mov_b32 s18, 0
	ds_load_b128 v[112:115], v0
	v_lshrrev_b32_e32 v11, 27, v11
	s_delay_alu instid0(VALU_DEP_1) | instskip(SKIP_2) | instid1(VALU_DEP_1)
	v_add_nc_u32_e32 v13, v101, v11
	ds_load_b64 v[11:12], v0
	v_and_b32_e32 v13, 0xffffffe0, v13
	v_sub_nc_u32_e32 v13, v101, v13
	s_delay_alu instid0(VALU_DEP_1) | instskip(NEXT) | instid1(VALU_DEP_1)
	v_add3_u32 v48, v39, v13, v10
	v_ashrrev_i32_e32 v49, 31, v48
	s_waitcnt lgkmcnt(0)
	v_add_co_u32 v116, vcc_lo, 0xe0, v11
	v_add_co_ci_u32_e32 v117, vcc_lo, 0, v12, vcc_lo
	v_add_co_u32 v10, vcc_lo, v112, v48
	v_add_co_ci_u32_e32 v11, vcc_lo, v113, v49, vcc_lo
	;; [unrolled: 2-line block ×4, first 2 shown]
.LBB4_219:                              ;   Parent Loop BB4_107 Depth=1
                                        ; =>  This Inner Loop Header: Depth=2
	s_delay_alu instid0(VALU_DEP_2) | instskip(NEXT) | instid1(VALU_DEP_2)
	v_add_co_u32 v112, vcc_lo, 0xffffff20, v48
	v_add_co_ci_u32_e32 v113, vcc_lo, -1, v49, vcc_lo
	v_add_co_u32 v114, vcc_lo, 0xffffff40, v48
	v_add_co_ci_u32_e32 v115, vcc_lo, -1, v49, vcc_lo
	v_add_co_u32 v116, vcc_lo, 0xffffff60, v48
	v_add_co_ci_u32_e32 v117, vcc_lo, -1, v49, vcc_lo
	v_add_co_u32 v118, vcc_lo, 0xffffff80, v48
	v_add_co_ci_u32_e32 v119, vcc_lo, -1, v49, vcc_lo
	v_add_co_u32 v128, vcc_lo, 0xffffffa0, v48
	v_add_co_ci_u32_e32 v129, vcc_lo, -1, v49, vcc_lo
	v_add_co_u32 v130, vcc_lo, 0xffffffc0, v48
	v_add_co_ci_u32_e32 v131, vcc_lo, -1, v49, vcc_lo
	v_add_co_u32 v132, vcc_lo, 0xffffffe0, v48
	v_add_co_ci_u32_e32 v133, vcc_lo, -1, v49, vcc_lo
	flat_load_u8 v134, v[48:49] slc dlc
	flat_load_u8 v112, v[112:113] slc dlc
	;; [unrolled: 1-line block ×8, first 2 shown]
	v_sub_nc_u32_e32 v102, v102, v54
	v_add_co_u32 v48, vcc_lo, v48, v83
	v_add_co_ci_u32_e32 v49, vcc_lo, v49, v84, vcc_lo
	s_delay_alu instid0(VALU_DEP_3)
	v_cmp_gt_i32_e32 vcc_lo, 1, v102
	s_waitcnt vmcnt(6) lgkmcnt(6)
	flat_store_b8 v[10:11], v112 glc slc dlc
	s_waitcnt vmcnt(5) lgkmcnt(6)
	flat_store_b8 v[10:11], v113 offset:32 glc slc dlc
	s_waitcnt vmcnt(4) lgkmcnt(6)
	flat_store_b8 v[10:11], v114 offset:64 glc slc dlc
	;; [unrolled: 2-line block ×5, first 2 shown]
	s_waitcnt vmcnt(0) lgkmcnt(6)
	s_clause 0x1
	flat_store_b8 v[10:11], v118 offset:192 glc slc dlc
	flat_store_b8 v[10:11], v134 offset:224 glc slc dlc
	s_clause 0x7
	flat_store_b8 v[12:13], v112 glc slc dlc
	flat_store_b8 v[12:13], v113 offset:32 glc slc dlc
	flat_store_b8 v[12:13], v114 offset:64 glc slc dlc
	;; [unrolled: 1-line block ×7, first 2 shown]
	v_add_co_u32 v10, s16, v10, v83
	s_delay_alu instid0(VALU_DEP_1) | instskip(SKIP_1) | instid1(VALU_DEP_1)
	v_add_co_ci_u32_e64 v11, s16, v11, v84, s16
	v_add_co_u32 v12, s16, v12, v83
	v_add_co_ci_u32_e64 v13, s16, v13, v84, s16
	s_or_b32 s18, vcc_lo, s18
	s_delay_alu instid0(SALU_CYCLE_1)
	s_and_not1_b32 exec_lo, exec_lo, s18
	s_cbranch_execnz .LBB4_219
; %bb.220:                              ;   in Loop: Header=BB4_107 Depth=1
	s_or_b32 exec_lo, exec_lo, s18
.LBB4_221:                              ;   in Loop: Header=BB4_107 Depth=1
	s_delay_alu instid0(SALU_CYCLE_1) | instskip(SKIP_1) | instid1(VALU_DEP_1)
	s_or_b32 exec_lo, exec_lo, s17
	v_lshlrev_b32_e32 v10, 8, v103
	v_cmp_ne_u32_e32 vcc_lo, v100, v10
	s_and_b32 exec_lo, exec_lo, vcc_lo
	s_cbranch_execz .LBB4_228
; %bb.222:                              ;   in Loop: Header=BB4_107 Depth=1
	v_ashrrev_i32_e32 v11, 31, v101
	v_lshlrev_b32_e32 v12, 5, v102
	s_delay_alu instid0(VALU_DEP_2) | instskip(NEXT) | instid1(VALU_DEP_1)
	v_lshrrev_b32_e32 v11, 27, v11
	v_add_nc_u32_e32 v11, v101, v11
	s_delay_alu instid0(VALU_DEP_1) | instskip(NEXT) | instid1(VALU_DEP_1)
	v_and_b32_e32 v11, 0xffffffe0, v11
	v_sub_nc_u32_e32 v11, v101, v11
	s_delay_alu instid0(VALU_DEP_1) | instskip(NEXT) | instid1(VALU_DEP_1)
	v_sub_nc_u32_e32 v11, v11, v12
	v_add_nc_u32_e32 v10, v10, v11
	s_delay_alu instid0(VALU_DEP_1) | instskip(NEXT) | instid1(VALU_DEP_1)
	v_sub_nc_u32_e32 v12, v100, v10
	v_cmp_lt_i32_e32 vcc_lo, 0, v12
	s_and_b32 exec_lo, exec_lo, vcc_lo
	s_cbranch_execz .LBB4_228
; %bb.223:                              ;   in Loop: Header=BB4_107 Depth=1
	s_cbranch_execnz .LBB4_1521
; %bb.224:                              ;   in Loop: Header=BB4_107 Depth=1
	ds_load_b64 v[48:49], v0
	ds_load_b128 v[100:103], v0
	v_add_nc_u32_e32 v112, v10, v39
	s_mov_b32 s31, 0
	s_delay_alu instid0(VALU_DEP_1) | instskip(SKIP_2) | instid1(VALU_DEP_2)
	v_ashrrev_i32_e32 v113, 31, v112
	s_waitcnt lgkmcnt(1)
	v_add_co_u32 v10, vcc_lo, v48, v112
	v_add_co_ci_u32_e32 v11, vcc_lo, v49, v113, vcc_lo
	s_waitcnt lgkmcnt(0)
	v_add_co_u32 v13, vcc_lo, v100, v112
	v_add_co_ci_u32_e32 v39, vcc_lo, v101, v113, vcc_lo
	v_add_co_u32 v48, vcc_lo, v102, v112
	v_add_co_ci_u32_e32 v49, vcc_lo, v103, v113, vcc_lo
	s_set_inst_prefetch_distance 0x1
.LBB4_225:                              ;   Parent Loop BB4_107 Depth=1
                                        ; =>  This Loop Header: Depth=2
                                        ;       Child Loop BB4_226 Depth 3
	flat_load_u8 v100, v[10:11] slc dlc
	s_mov_b64 s[18:19], 0
	s_mov_b32 s34, -1
.LBB4_226:                              ;   Parent Loop BB4_107 Depth=1
                                        ;     Parent Loop BB4_225 Depth=2
                                        ; =>    This Inner Loop Header: Depth=3
	s_cmp_eq_u32 s18, 1
	s_cselect_b32 vcc_lo, -1, 0
	s_cmp_eq_u32 s18, 0
	v_dual_cndmask_b32 v102, v39, v49 :: v_dual_cndmask_b32 v101, v13, v48
	s_mov_b64 s[18:19], 1
	s_delay_alu instid0(VALU_DEP_1) | instskip(NEXT) | instid1(VALU_DEP_1)
	v_add_co_u32 v103, s16, v101, 32
	v_add_co_ci_u32_e64 v112, s16, 0, v102, s16
	s_cselect_b32 s16, -1, 0
	s_and_b32 s17, exec_lo, s34
	s_delay_alu instid0(VALU_DEP_1)
	v_dual_cndmask_b32 v48, v48, v103 :: v_dual_cndmask_b32 v49, v49, v112
	v_cndmask_b32_e64 v39, v39, v112, s16
	v_cndmask_b32_e64 v13, v13, v103, s16
	s_mov_b32 s34, 0
	s_mov_b32 vcc_lo, s17
	s_waitcnt vmcnt(0) lgkmcnt(0)
	flat_store_b8 v[101:102], v100 glc slc dlc
	s_cbranch_vccnz .LBB4_226
; %bb.227:                              ;   in Loop: Header=BB4_225 Depth=2
	v_add_co_u32 v13, vcc_lo, v13, v82
	v_sub_nc_u32_e32 v12, v12, v64
	v_add_co_ci_u32_e32 v39, vcc_lo, v39, v85, vcc_lo
	v_add_co_u32 v48, vcc_lo, v48, v82
	v_add_co_ci_u32_e32 v49, vcc_lo, v49, v85, vcc_lo
	s_delay_alu instid0(VALU_DEP_4) | instskip(SKIP_1) | instid1(VALU_DEP_1)
	v_cmp_gt_i32_e32 vcc_lo, 1, v12
	v_add_co_u32 v10, s16, v86, v10
	v_add_co_ci_u32_e64 v11, s16, v87, v11, s16
	s_or_b32 s31, vcc_lo, s31
	s_delay_alu instid0(SALU_CYCLE_1)
	s_and_not1_b32 exec_lo, exec_lo, s31
	s_cbranch_execnz .LBB4_225
.LBB4_228:                              ;   in Loop: Header=BB4_107 Depth=1
	s_set_inst_prefetch_distance 0x2
	s_or_b32 exec_lo, exec_lo, s30
	s_mov_b32 s16, 0
	s_branch .LBB4_230
.LBB4_229:                              ;   in Loop: Header=BB4_107 Depth=1
	s_mov_b32 s16, -1
.LBB4_230:                              ;   in Loop: Header=BB4_107 Depth=1
	s_delay_alu instid0(SALU_CYCLE_1)
	s_and_b32 vcc_lo, exec_lo, s16
	s_cbranch_vccz .LBB4_263
; %bb.231:                              ;   in Loop: Header=BB4_107 Depth=1
	s_mov_b32 s16, -1
	s_and_saveexec_b32 s17, s6
	s_cbranch_execz .LBB4_233
; %bb.232:                              ;   in Loop: Header=BB4_107 Depth=1
	ds_load_b32 v10, v0 offset:720
	s_waitcnt lgkmcnt(0)
	v_and_b32_e32 v10, 15, v10
	s_delay_alu instid0(VALU_DEP_1)
	v_cmp_eq_u32_e32 vcc_lo, 0, v10
	s_or_not1_b32 s16, vcc_lo, exec_lo
.LBB4_233:                              ;   in Loop: Header=BB4_107 Depth=1
	s_or_b32 exec_lo, exec_lo, s17
	s_and_saveexec_b32 s17, s10
	s_cbranch_execz .LBB4_235
; %bb.234:                              ;   in Loop: Header=BB4_107 Depth=1
	ds_load_b32 v10, v0 offset:784
	s_waitcnt lgkmcnt(0)
	v_and_b32_e32 v10, 15, v10
	s_delay_alu instid0(VALU_DEP_1) | instskip(SKIP_3) | instid1(SALU_CYCLE_1)
	v_cmp_eq_u32_e32 vcc_lo, 0, v10
	s_and_b32 s18, s16, vcc_lo
	s_and_not1_b32 s16, s16, exec_lo
	s_and_b32 s18, s18, exec_lo
	s_or_b32 s16, s16, s18
.LBB4_235:                              ;   in Loop: Header=BB4_107 Depth=1
	s_or_b32 exec_lo, exec_lo, s17
	s_xor_b32 s16, s16, -1
	v_dual_mov_b32 v48, 0 :: v_dual_mov_b32 v39, v1
	v_cndmask_b32_e64 v10, 0, 1, s16
	;;#ASMSTART
	;;#ASMEND
	s_delay_alu instid0(VALU_DEP_1)
	v_cmp_ne_u32_e32 vcc_lo, 0, v10
	v_mov_b32_e32 v49, v0
	v_mov_b32_e32 v102, v68
	s_mov_b32 s16, -1
	s_cbranch_vccnz .LBB4_251
; %bb.236:                              ;   in Loop: Header=BB4_107 Depth=1
	v_ashrrev_i32_e32 v10, 31, v1
	s_mov_b32 s17, exec_lo
	s_delay_alu instid0(VALU_DEP_1) | instskip(NEXT) | instid1(VALU_DEP_1)
	v_lshrrev_b32_e32 v10, 22, v10
	v_add_nc_u32_e32 v10, v1, v10
	s_delay_alu instid0(VALU_DEP_1) | instskip(NEXT) | instid1(VALU_DEP_1)
	v_ashrrev_i32_e32 v39, 10, v10
	v_sub_nc_u32_e32 v100, v39, v68
	s_delay_alu instid0(VALU_DEP_1)
	v_cmpx_lt_i32_e32 0, v100
	s_cbranch_execz .LBB4_241
; %bb.237:                              ;   in Loop: Header=BB4_107 Depth=1
	s_cbranch_execnz .LBB4_1493
; %bb.238:                              ;   in Loop: Header=BB4_107 Depth=1
	ds_load_b64 v[10:11], v0
	v_dual_mov_b32 v12, v34 :: v_dual_mov_b32 v13, v35
	s_mov_b32 s18, 0
.LBB4_239:                              ;   Parent Loop BB4_107 Depth=1
                                        ; =>  This Inner Loop Header: Depth=2
	s_waitcnt lgkmcnt(0)
	s_delay_alu instid0(VALU_DEP_1) | instskip(NEXT) | instid1(VALU_DEP_2)
	v_add_co_u32 v48, vcc_lo, v10, v12
	v_add_co_ci_u32_e32 v49, vcc_lo, v11, v13, vcc_lo
	v_sub_nc_u32_e32 v100, v100, v54
	v_add_co_u32 v12, s16, v12, v96
	s_clause 0x1
	global_load_b128 v[112:115], v[48:49], off slc dlc
	global_load_b128 v[116:119], v[48:49], off offset:512 slc dlc
	v_add_co_ci_u32_e64 v13, s16, v13, v97, s16
	v_cmp_gt_i32_e32 vcc_lo, 1, v100
	s_waitcnt vmcnt(1)
	global_store_b128 v[48:49], v[112:115], off glc slc dlc
	s_waitcnt vmcnt(0)
	global_store_b128 v[48:49], v[116:119], off offset:512 glc slc dlc
	s_or_b32 s18, vcc_lo, s18
	s_delay_alu instid0(SALU_CYCLE_1)
	s_and_not1_b32 exec_lo, exec_lo, s18
	s_cbranch_execnz .LBB4_239
; %bb.240:                              ;   in Loop: Header=BB4_107 Depth=1
	s_or_b32 exec_lo, exec_lo, s18
.LBB4_241:                              ;   in Loop: Header=BB4_107 Depth=1
	s_delay_alu instid0(SALU_CYCLE_1) | instskip(SKIP_4) | instid1(VALU_DEP_2)
	s_or_b32 exec_lo, exec_lo, s17
	v_lshlrev_b32_e32 v12, 10, v39
	v_mov_b32_e32 v48, 0
	s_mov_b32 s16, 0
	s_mov_b32 s18, exec_lo
                                        ; implicit-def: $vgpr39
                                        ; implicit-def: $vgpr49
                                        ; implicit-def: $vgpr102
	v_cmpx_ne_u32_e64 v1, v12
	s_cbranch_execz .LBB4_250
; %bb.242:                              ;   in Loop: Header=BB4_107 Depth=1
	v_lshlrev_b32_e32 v10, 5, v100
	v_sub_nc_u32_e32 v39, v1, v12
	s_mov_b32 s19, exec_lo
	s_delay_alu instid0(VALU_DEP_2) | instskip(NEXT) | instid1(VALU_DEP_2)
	v_sub_nc_u32_e32 v10, v69, v10
	v_ashrrev_i32_e32 v13, 31, v39
	s_delay_alu instid0(VALU_DEP_2) | instskip(NEXT) | instid1(VALU_DEP_2)
	v_ashrrev_i32_e32 v11, 31, v10
	v_lshrrev_b32_e32 v13, 23, v13
	s_delay_alu instid0(VALU_DEP_2) | instskip(NEXT) | instid1(VALU_DEP_2)
	v_lshrrev_b32_e32 v11, 27, v11
	v_add_nc_u32_e32 v49, v39, v13
	s_delay_alu instid0(VALU_DEP_2) | instskip(NEXT) | instid1(VALU_DEP_2)
	v_add_nc_u32_e32 v11, v10, v11
	v_and_b32_e32 v13, 0xfffffe00, v49
	v_ashrrev_i32_e32 v49, 9, v49
	s_delay_alu instid0(VALU_DEP_3) | instskip(NEXT) | instid1(VALU_DEP_3)
	v_and_b32_e32 v48, 0xffffffe0, v11
	v_sub_nc_u32_e32 v101, v39, v13
	s_delay_alu instid0(VALU_DEP_2) | instskip(SKIP_1) | instid1(VALU_DEP_3)
	v_sub_nc_u32_e32 v100, v10, v48
	v_ashrrev_i32_e32 v10, 5, v11
	v_cmp_lt_i32_e32 vcc_lo, 15, v101
	s_delay_alu instid0(VALU_DEP_3) | instskip(NEXT) | instid1(VALU_DEP_1)
	v_lshlrev_b32_e32 v11, 4, v100
	v_lshl_add_u32 v48, v10, 9, v11
	v_add_co_ci_u32_e64 v11, s16, 0, v49, vcc_lo
	s_delay_alu instid0(VALU_DEP_2) | instskip(NEXT) | instid1(VALU_DEP_2)
	v_sub_nc_u32_e32 v39, v39, v48
	v_sub_nc_u32_e32 v103, v11, v10
	s_delay_alu instid0(VALU_DEP_2)
	v_cmpx_lt_i32_e32 15, v39
	s_cbranch_execz .LBB4_247
; %bb.243:                              ;   in Loop: Header=BB4_107 Depth=1
	s_cbranch_execnz .LBB4_1543
; %bb.244:                              ;   in Loop: Header=BB4_107 Depth=1
	ds_load_b64 v[10:11], v0
	v_add_nc_u32_e32 v48, v48, v12
	s_mov_b32 s30, 0
	s_delay_alu instid0(VALU_DEP_1)
	v_ashrrev_i32_e32 v49, 31, v48
.LBB4_245:                              ;   Parent Loop BB4_107 Depth=1
                                        ; =>  This Inner Loop Header: Depth=2
	s_waitcnt lgkmcnt(0)
	v_add_co_u32 v116, s16, v10, v48
	s_delay_alu instid0(VALU_DEP_1)
	v_add_co_ci_u32_e64 v117, s16, v11, v49, s16
	v_sub_nc_u32_e32 v39, v39, v65
	v_add_co_u32 v48, s17, v48, v80
	global_load_b128 v[112:115], v[116:117], off slc dlc
	v_sub_nc_u32_e32 v103, v103, v54
	v_cmp_gt_i32_e64 s16, 16, v39
	v_add_co_ci_u32_e64 v49, s17, v49, v81, s17
	s_delay_alu instid0(VALU_DEP_2)
	s_or_b32 s30, s16, s30
	s_waitcnt vmcnt(0)
	global_store_b128 v[116:117], v[112:115], off glc slc dlc
	s_and_not1_b32 exec_lo, exec_lo, s30
	s_cbranch_execnz .LBB4_245
; %bb.246:                              ;   in Loop: Header=BB4_107 Depth=1
	s_or_b32 exec_lo, exec_lo, s30
.LBB4_247:                              ;   in Loop: Header=BB4_107 Depth=1
	s_delay_alu instid0(SALU_CYCLE_1) | instskip(SKIP_3) | instid1(VALU_DEP_1)
	s_or_b32 exec_lo, exec_lo, s19
	v_and_b32_e32 v10, 15, v1
	s_mov_b32 s17, 0
	s_mov_b32 s19, exec_lo
                                        ; implicit-def: $vgpr49
                                        ; implicit-def: $vgpr102
	v_dual_mov_b32 v48, 0 :: v_dual_cndmask_b32 v39, v101, v10
	s_delay_alu instid0(VALU_DEP_1)
	v_cmpx_ne_u32_e32 0, v39
; %bb.248:                              ;   in Loop: Header=BB4_107 Depth=1
	v_cmp_lt_i32_e64 s16, 0, v103
	v_sub_nc_u32_e32 v10, v101, v10
	s_mov_b32 s17, exec_lo
	s_delay_alu instid0(VALU_DEP_2) | instskip(NEXT) | instid1(VALU_DEP_1)
	v_cndmask_b32_e64 v11, 0, v54, s16
	v_sub_nc_u32_e32 v11, v11, v103
	s_delay_alu instid0(VALU_DEP_1) | instskip(NEXT) | instid1(VALU_DEP_1)
	v_lshl_add_u32 v49, v11, 5, v100
	v_ashrrev_i32_e32 v11, 31, v49
	s_delay_alu instid0(VALU_DEP_1) | instskip(NEXT) | instid1(VALU_DEP_1)
	v_lshrrev_b32_e32 v11, 27, v11
	v_dual_cndmask_b32 v10, 0, v10 :: v_dual_add_nc_u32 v11, v49, v11
	s_delay_alu instid0(VALU_DEP_1) | instskip(NEXT) | instid1(VALU_DEP_2)
	v_add3_u32 v48, v13, v12, v10
	v_ashrrev_i32_e32 v102, 5, v11
; %bb.249:                              ;   in Loop: Header=BB4_107 Depth=1
	s_or_b32 exec_lo, exec_lo, s19
	s_delay_alu instid0(SALU_CYCLE_1)
	s_and_b32 s16, s17, exec_lo
.LBB4_250:                              ;   in Loop: Header=BB4_107 Depth=1
	s_or_b32 exec_lo, exec_lo, s18
.LBB4_251:                              ;   in Loop: Header=BB4_107 Depth=1
	s_and_saveexec_b32 s17, s16
	s_cbranch_execz .LBB4_262
; %bb.252:                              ;   in Loop: Header=BB4_107 Depth=1
	v_ashrrev_i32_e32 v10, 31, v39
	s_mov_b32 s16, exec_lo
	s_delay_alu instid0(VALU_DEP_1) | instskip(NEXT) | instid1(VALU_DEP_1)
	v_lshrrev_b32_e32 v10, 24, v10
	v_add_nc_u32_e32 v10, v39, v10
	s_delay_alu instid0(VALU_DEP_1) | instskip(NEXT) | instid1(VALU_DEP_1)
	v_ashrrev_i32_e32 v101, 8, v10
	v_sub_nc_u32_e32 v100, v101, v102
	s_delay_alu instid0(VALU_DEP_1)
	v_cmpx_lt_i32_e32 0, v100
	s_cbranch_execz .LBB4_257
; %bb.253:                              ;   in Loop: Header=BB4_107 Depth=1
	s_cbranch_execnz .LBB4_1489
; %bb.254:                              ;   in Loop: Header=BB4_107 Depth=1
	v_ashrrev_i32_e32 v10, 31, v49
	s_mov_b32 s18, 0
	s_delay_alu instid0(VALU_DEP_1) | instskip(NEXT) | instid1(VALU_DEP_1)
	v_lshrrev_b32_e32 v10, 27, v10
	v_add_nc_u32_e32 v12, v49, v10
	ds_load_b64 v[10:11], v0
	v_lshlrev_b32_e32 v13, 8, v102
	v_and_b32_e32 v12, 0xffffffe0, v12
	s_delay_alu instid0(VALU_DEP_1) | instskip(NEXT) | instid1(VALU_DEP_1)
	v_sub_nc_u32_e32 v12, v49, v12
	v_add3_u32 v102, v48, v12, v13
	s_delay_alu instid0(VALU_DEP_1)
	v_ashrrev_i32_e32 v103, 31, v102
	s_waitcnt lgkmcnt(0)
	v_dual_mov_b32 v13, v11 :: v_dual_mov_b32 v12, v10
.LBB4_255:                              ;   Parent Loop BB4_107 Depth=1
                                        ; =>  This Inner Loop Header: Depth=2
	s_delay_alu instid0(VALU_DEP_1) | instskip(NEXT) | instid1(VALU_DEP_2)
	v_add_co_u32 v112, vcc_lo, v102, v12
	v_add_co_ci_u32_e32 v113, vcc_lo, v103, v13, vcc_lo
	v_sub_nc_u32_e32 v100, v100, v54
	s_clause 0x7
	flat_load_u8 v114, v[112:113] slc dlc
	flat_load_u8 v115, v[112:113] offset:32 slc dlc
	flat_load_u8 v116, v[112:113] offset:64 slc dlc
	;; [unrolled: 1-line block ×7, first 2 shown]
	v_add_co_u32 v112, vcc_lo, v102, v10
	v_add_co_ci_u32_e32 v113, vcc_lo, v103, v11, vcc_lo
	v_add_co_u32 v12, vcc_lo, v12, v83
	v_add_co_ci_u32_e32 v13, vcc_lo, v13, v84, vcc_lo
	;; [unrolled: 2-line block ×3, first 2 shown]
	v_cmp_gt_i32_e32 vcc_lo, 1, v100
	s_waitcnt vmcnt(7) lgkmcnt(7)
	flat_store_b8 v[112:113], v114 glc slc dlc
	s_waitcnt vmcnt(6) lgkmcnt(7)
	flat_store_b8 v[112:113], v115 offset:32 glc slc dlc
	s_waitcnt vmcnt(5) lgkmcnt(7)
	flat_store_b8 v[112:113], v116 offset:64 glc slc dlc
	;; [unrolled: 2-line block ×7, first 2 shown]
	s_or_b32 s18, vcc_lo, s18
	s_delay_alu instid0(SALU_CYCLE_1)
	s_and_not1_b32 exec_lo, exec_lo, s18
	s_cbranch_execnz .LBB4_255
; %bb.256:                              ;   in Loop: Header=BB4_107 Depth=1
	s_or_b32 exec_lo, exec_lo, s18
.LBB4_257:                              ;   in Loop: Header=BB4_107 Depth=1
	s_delay_alu instid0(SALU_CYCLE_1) | instskip(SKIP_1) | instid1(VALU_DEP_1)
	s_or_b32 exec_lo, exec_lo, s16
	v_lshlrev_b32_e32 v10, 8, v101
	v_cmp_ne_u32_e32 vcc_lo, v39, v10
	s_and_b32 exec_lo, exec_lo, vcc_lo
	s_cbranch_execz .LBB4_262
; %bb.258:                              ;   in Loop: Header=BB4_107 Depth=1
	v_ashrrev_i32_e32 v11, 31, v49
	v_lshlrev_b32_e32 v12, 5, v100
	s_delay_alu instid0(VALU_DEP_2) | instskip(NEXT) | instid1(VALU_DEP_1)
	v_lshrrev_b32_e32 v11, 27, v11
	v_add_nc_u32_e32 v11, v49, v11
	s_delay_alu instid0(VALU_DEP_1) | instskip(NEXT) | instid1(VALU_DEP_1)
	v_and_b32_e32 v11, 0xffffffe0, v11
	v_sub_nc_u32_e32 v11, v49, v11
	s_delay_alu instid0(VALU_DEP_1) | instskip(NEXT) | instid1(VALU_DEP_1)
	v_sub_nc_u32_e32 v11, v11, v12
	v_add_nc_u32_e32 v13, v10, v11
	s_delay_alu instid0(VALU_DEP_1) | instskip(NEXT) | instid1(VALU_DEP_1)
	v_sub_nc_u32_e32 v12, v39, v13
	v_cmp_lt_i32_e32 vcc_lo, 0, v12
	s_and_b32 exec_lo, exec_lo, vcc_lo
	s_cbranch_execz .LBB4_262
; %bb.259:                              ;   in Loop: Header=BB4_107 Depth=1
	s_cbranch_execnz .LBB4_1539
; %bb.260:                              ;   in Loop: Header=BB4_107 Depth=1
	ds_load_b64 v[10:11], v0
	v_add_nc_u32_e32 v13, v13, v48
	s_mov_b32 s18, 0
	s_delay_alu instid0(VALU_DEP_1)
	v_ashrrev_i32_e32 v39, 31, v13
.LBB4_261:                              ;   Parent Loop BB4_107 Depth=1
                                        ; =>  This Inner Loop Header: Depth=2
	s_waitcnt lgkmcnt(0)
	v_add_co_u32 v48, vcc_lo, v10, v13
	s_delay_alu instid0(VALU_DEP_2)
	v_add_co_ci_u32_e32 v49, vcc_lo, v11, v39, vcc_lo
	v_sub_nc_u32_e32 v12, v12, v64
	v_add_co_u32 v13, s16, v13, v86
	flat_load_u8 v100, v[48:49] slc dlc
	v_add_co_ci_u32_e64 v39, s16, v39, v87, s16
	v_cmp_gt_i32_e32 vcc_lo, 1, v12
	s_or_b32 s18, vcc_lo, s18
	s_waitcnt vmcnt(0) lgkmcnt(0)
	flat_store_b8 v[48:49], v100 glc slc dlc
	s_and_not1_b32 exec_lo, exec_lo, s18
	s_cbranch_execnz .LBB4_261
.LBB4_262:                              ;   in Loop: Header=BB4_107 Depth=1
	s_or_b32 exec_lo, exec_lo, s17
.LBB4_263:                              ;   in Loop: Header=BB4_107 Depth=1
	v_cmp_lt_i32_e64 s16, 0, v1
.LBB4_264:                              ;   in Loop: Header=BB4_107 Depth=1
	s_and_saveexec_b32 s17, s3
	s_cbranch_execz .LBB4_286
; %bb.265:                              ;   in Loop: Header=BB4_107 Depth=1
	s_and_saveexec_b32 s18, s4
	s_delay_alu instid0(SALU_CYCLE_1)
	s_xor_b32 s18, exec_lo, s18
	s_cbranch_execz .LBB4_283
; %bb.266:                              ;   in Loop: Header=BB4_107 Depth=1
	s_and_saveexec_b32 s19, s5
	s_cbranch_execz .LBB4_282
; %bb.267:                              ;   in Loop: Header=BB4_107 Depth=1
	s_mov_b32 s31, exec_lo
	s_mov_b32 s30, exec_lo
	v_mbcnt_lo_u32_b32 v1, s31, 0
	s_waitcnt lgkmcnt(0)
	s_waitcnt_vscnt null, 0x0
	buffer_gl1_inv
	buffer_gl0_inv
	v_cmpx_eq_u32_e32 0, v1
	s_cbranch_execz .LBB4_269
; %bb.268:                              ;   in Loop: Header=BB4_107 Depth=1
	s_bcnt1_i32_b32 vcc_lo, s31
	s_delay_alu instid0(SALU_CYCLE_1)
	v_mov_b32_e32 v1, vcc_lo
	ds_add_u64 v0, v[1:2]
	s_cbranch_execnz .LBB4_1455
.LBB4_269:                              ;   in Loop: Header=BB4_107 Depth=1
	s_or_b32 exec_lo, exec_lo, s30
	s_cbranch_execnz .LBB4_1398
; %bb.270:                              ;   in Loop: Header=BB4_107 Depth=1
	ds_load_b64 v[10:11], v0
	v_add_co_u32 v26, vcc_lo, v26, v54
	v_add_co_ci_u32_e32 v27, vcc_lo, 0, v27, vcc_lo
	s_mov_b32 s30, exec_lo
	s_waitcnt lgkmcnt(0)
	s_delay_alu instid0(VALU_DEP_1)
	v_cmpx_lt_u64_e64 v[10:11], v[26:27]
	s_cbranch_execz .LBB4_281
; %bb.271:                              ;   in Loop: Header=BB4_107 Depth=1
	s_mov_b32 s31, 0
	s_mov_b32 s36, 0
                                        ; implicit-def: $sgpr34
                                        ; implicit-def: $sgpr35
	s_branch .LBB4_273
.LBB4_272:                              ;   in Loop: Header=BB4_273 Depth=2
	s_or_b32 exec_lo, exec_lo, s38
	s_delay_alu instid0(SALU_CYCLE_1) | instskip(NEXT) | instid1(SALU_CYCLE_1)
	s_and_b32 vcc_lo, exec_lo, vcc_lo
	s_or_b32 s31, vcc_lo, s31
	s_and_not1_b32 vcc_lo, s34, exec_lo
	s_and_b32 s34, s35, exec_lo
	s_delay_alu instid0(SALU_CYCLE_1)
	s_or_b32 s34, vcc_lo, s34
	s_and_not1_b32 exec_lo, exec_lo, s31
	s_cbranch_execz .LBB4_279
.LBB4_273:                              ;   Parent Loop BB4_107 Depth=1
                                        ; =>  This Inner Loop Header: Depth=2
	s_add_i32 s36, s36, 1
                                        ; implicit-def: $sgpr38
	s_delay_alu instid0(SALU_CYCLE_1) | instskip(SKIP_1) | instid1(SALU_CYCLE_1)
	s_cmpk_lg_i32 s36, 0x2710
	s_cselect_b32 s37, -1, 0
	s_and_b32 vcc_lo, exec_lo, s37
	s_cbranch_vccz .LBB4_277
.LBB4_274:                              ;   in Loop: Header=BB4_273 Depth=2
	s_and_not1_b32 s35, s35, exec_lo
	s_and_b32 s38, s38, exec_lo
	s_mov_b32 vcc_lo, -1
	s_or_b32 s35, s35, s38
	s_and_saveexec_b32 s38, s37
	s_cbranch_execz .LBB4_272
; %bb.275:                              ;   in Loop: Header=BB4_273 Depth=2
	s_sleep 1
	s_cbranch_execnz .LBB4_1501
; %bb.276:                              ;   in Loop: Header=BB4_273 Depth=2
	ds_load_b64 v[10:11], v0
	s_and_not1_b32 s35, s35, exec_lo
	s_waitcnt lgkmcnt(0)
	v_cmp_ge_u64_e32 vcc_lo, v[10:11], v[26:27]
	s_or_not1_b32 vcc_lo, vcc_lo, exec_lo
	s_branch .LBB4_272
.LBB4_277:                              ;   in Loop: Header=BB4_273 Depth=2
	s_cbranch_execnz .LBB4_1515
; %bb.278:                              ;   in Loop: Header=BB4_273 Depth=2
	ds_load_b64 v[10:11], v0
	s_and_not1_b32 s37, s37, exec_lo
	s_mov_b32 s36, 0
	s_mov_b32 s38, -1
	s_waitcnt lgkmcnt(0)
	flat_load_b32 v1, v[10:11] glc
	s_waitcnt vmcnt(0) lgkmcnt(0)
	buffer_gl1_inv
	buffer_gl0_inv
	v_cmp_eq_u32_e32 vcc_lo, 0, v1
	s_and_b32 vcc_lo, vcc_lo, exec_lo
	s_delay_alu instid0(SALU_CYCLE_1)
	s_or_b32 s37, s37, vcc_lo
	s_branch .LBB4_274
.LBB4_279:                              ;   in Loop: Header=BB4_107 Depth=1
	s_or_b32 exec_lo, exec_lo, s31
	s_and_saveexec_b32 vcc_lo, s34
	s_delay_alu instid0(SALU_CYCLE_1)
	s_xor_b32 vcc_lo, exec_lo, vcc_lo
	s_cbranch_execz .LBB4_281
; %bb.280:                              ;   in Loop: Header=BB4_107 Depth=1
	ds_store_b32 v0, v98
	s_cbranch_execnz .LBB4_1583
.LBB4_281:                              ;   in Loop: Header=BB4_107 Depth=1
	s_or_b32 exec_lo, exec_lo, s30
	;;#ASMSTART
	s_wakeup
	;;#ASMEND
.LBB4_282:                              ;   in Loop: Header=BB4_107 Depth=1
	s_or_b32 exec_lo, exec_lo, s19
.LBB4_283:                              ;   in Loop: Header=BB4_107 Depth=1
	s_and_not1_saveexec_b32 s18, s18
	s_cbranch_execz .LBB4_285
; %bb.284:                              ;   in Loop: Header=BB4_107 Depth=1
	s_waitcnt lgkmcnt(0)
	s_waitcnt_vscnt null, 0x0
	buffer_gl1_inv
	buffer_gl0_inv
	s_barrier
.LBB4_285:                              ;   in Loop: Header=BB4_107 Depth=1
	s_or_b32 exec_lo, exec_lo, s18
.LBB4_286:                              ;   in Loop: Header=BB4_107 Depth=1
	s_delay_alu instid0(SALU_CYCLE_1) | instskip(SKIP_1) | instid1(SALU_CYCLE_1)
	s_or_b32 exec_lo, exec_lo, s17
                                        ; implicit-def: $vgpr1
	s_and_saveexec_b32 s17, s11
	s_xor_b32 s17, exec_lo, s17
	s_cbranch_execz .LBB4_290
; %bb.287:                              ;   in Loop: Header=BB4_107 Depth=1
	v_and_b32_e32 v1, 16, v50
	s_delay_alu instid0(VALU_DEP_1) | instskip(SKIP_2) | instid1(SALU_CYCLE_1)
	v_cmp_ne_u32_e32 vcc_lo, 0, v1
	v_and_b32_e32 v1, 16, v50
	s_and_b32 s18, vcc_lo, s16
	s_and_saveexec_b32 s16, s18
	s_cbranch_execz .LBB4_289
; %bb.288:                              ;   in Loop: Header=BB4_107 Depth=1
	v_mov_b32_e32 v1, 1
	s_waitcnt lgkmcnt(0)
	s_waitcnt_vscnt null, 0x0
	buffer_gl1_inv
	buffer_gl0_inv
.LBB4_289:                              ;   in Loop: Header=BB4_107 Depth=1
	s_or_b32 exec_lo, exec_lo, s16
.LBB4_290:                              ;   in Loop: Header=BB4_107 Depth=1
	s_and_not1_saveexec_b32 s16, s17
	s_cbranch_execz .LBB4_312
; %bb.291:                              ;   in Loop: Header=BB4_107 Depth=1
	s_and_saveexec_b32 s17, s4
	s_delay_alu instid0(SALU_CYCLE_1)
	s_xor_b32 s17, exec_lo, s17
	s_cbranch_execz .LBB4_309
; %bb.292:                              ;   in Loop: Header=BB4_107 Depth=1
	s_and_saveexec_b32 s18, s5
	s_cbranch_execz .LBB4_308
; %bb.293:                              ;   in Loop: Header=BB4_107 Depth=1
	s_mov_b32 s30, exec_lo
	s_mov_b32 s19, exec_lo
	v_mbcnt_lo_u32_b32 v1, s30, 0
	;;#ASMSTART
	s_waitcnt lgkmcnt(0) vmcnt(0)
	;;#ASMEND
	s_delay_alu instid0(VALU_DEP_1)
	v_cmpx_eq_u32_e32 0, v1
	s_cbranch_execz .LBB4_295
; %bb.294:                              ;   in Loop: Header=BB4_107 Depth=1
	s_bcnt1_i32_b32 vcc_lo, s30
	s_delay_alu instid0(SALU_CYCLE_1)
	v_mov_b32_e32 v1, vcc_lo
	ds_add_u64 v0, v[1:2]
	s_cbranch_execnz .LBB4_1461
.LBB4_295:                              ;   in Loop: Header=BB4_107 Depth=1
	s_or_b32 exec_lo, exec_lo, s19
	s_cbranch_execnz .LBB4_1408
; %bb.296:                              ;   in Loop: Header=BB4_107 Depth=1
	ds_load_b64 v[10:11], v0
	v_add_co_u32 v26, vcc_lo, v26, v54
	v_add_co_ci_u32_e32 v27, vcc_lo, 0, v27, vcc_lo
	s_mov_b32 s19, exec_lo
	s_waitcnt lgkmcnt(0)
	s_delay_alu instid0(VALU_DEP_1)
	v_cmpx_lt_u64_e64 v[10:11], v[26:27]
	s_cbranch_execz .LBB4_307
; %bb.297:                              ;   in Loop: Header=BB4_107 Depth=1
	s_mov_b32 s30, 0
	s_mov_b32 s35, 0
                                        ; implicit-def: $sgpr31
                                        ; implicit-def: $sgpr34
	s_branch .LBB4_299
.LBB4_298:                              ;   in Loop: Header=BB4_299 Depth=2
	s_or_b32 exec_lo, exec_lo, s37
	s_delay_alu instid0(SALU_CYCLE_1) | instskip(NEXT) | instid1(SALU_CYCLE_1)
	s_and_b32 vcc_lo, exec_lo, vcc_lo
	s_or_b32 s30, vcc_lo, s30
	s_and_not1_b32 vcc_lo, s31, exec_lo
	s_and_b32 s31, s34, exec_lo
	s_delay_alu instid0(SALU_CYCLE_1)
	s_or_b32 s31, vcc_lo, s31
	s_and_not1_b32 exec_lo, exec_lo, s30
	s_cbranch_execz .LBB4_305
.LBB4_299:                              ;   Parent Loop BB4_107 Depth=1
                                        ; =>  This Inner Loop Header: Depth=2
	s_add_i32 s35, s35, 1
                                        ; implicit-def: $sgpr37
	s_delay_alu instid0(SALU_CYCLE_1) | instskip(SKIP_1) | instid1(SALU_CYCLE_1)
	s_cmpk_lg_i32 s35, 0x2710
	s_cselect_b32 s36, -1, 0
	s_and_b32 vcc_lo, exec_lo, s36
	s_cbranch_vccz .LBB4_303
.LBB4_300:                              ;   in Loop: Header=BB4_299 Depth=2
	s_and_not1_b32 s34, s34, exec_lo
	s_and_b32 s37, s37, exec_lo
	s_mov_b32 vcc_lo, -1
	s_or_b32 s34, s34, s37
	s_and_saveexec_b32 s37, s36
	s_cbranch_execz .LBB4_298
; %bb.301:                              ;   in Loop: Header=BB4_299 Depth=2
	s_sleep 1
	s_cbranch_execnz .LBB4_1507
; %bb.302:                              ;   in Loop: Header=BB4_299 Depth=2
	ds_load_b64 v[10:11], v0
	s_and_not1_b32 s34, s34, exec_lo
	s_waitcnt lgkmcnt(0)
	v_cmp_ge_u64_e32 vcc_lo, v[10:11], v[26:27]
	s_or_not1_b32 vcc_lo, vcc_lo, exec_lo
	s_branch .LBB4_298
.LBB4_303:                              ;   in Loop: Header=BB4_299 Depth=2
	s_cbranch_execnz .LBB4_1525
; %bb.304:                              ;   in Loop: Header=BB4_299 Depth=2
	ds_load_b64 v[10:11], v0
	s_and_not1_b32 s36, s36, exec_lo
	s_mov_b32 s35, 0
	s_mov_b32 s37, -1
	s_waitcnt lgkmcnt(0)
	s_waitcnt_vscnt null, 0x0
	flat_load_b32 v1, v[10:11] glc
	s_waitcnt vmcnt(0) lgkmcnt(0)
	buffer_gl1_inv
	buffer_gl0_inv
	v_cmp_eq_u32_e32 vcc_lo, 0, v1
	s_and_b32 vcc_lo, vcc_lo, exec_lo
	s_delay_alu instid0(SALU_CYCLE_1)
	s_or_b32 s36, s36, vcc_lo
	s_branch .LBB4_300
.LBB4_305:                              ;   in Loop: Header=BB4_107 Depth=1
	s_or_b32 exec_lo, exec_lo, s30
	s_and_saveexec_b32 vcc_lo, s31
	s_delay_alu instid0(SALU_CYCLE_1)
	s_xor_b32 vcc_lo, exec_lo, vcc_lo
	s_cbranch_execz .LBB4_307
; %bb.306:                              ;   in Loop: Header=BB4_107 Depth=1
	ds_store_b32 v0, v98
	s_cbranch_execnz .LBB4_1587
.LBB4_307:                              ;   in Loop: Header=BB4_107 Depth=1
	s_or_b32 exec_lo, exec_lo, s19
	;;#ASMSTART
	s_wakeup
	;;#ASMEND
.LBB4_308:                              ;   in Loop: Header=BB4_107 Depth=1
	s_or_b32 exec_lo, exec_lo, s18
.LBB4_309:                              ;   in Loop: Header=BB4_107 Depth=1
	s_and_not1_saveexec_b32 s17, s17
	s_cbranch_execz .LBB4_311
; %bb.310:                              ;   in Loop: Header=BB4_107 Depth=1
	;;#ASMSTART
	s_waitcnt lgkmcnt(0) vmcnt(0)
	;;#ASMEND
	s_waitcnt lgkmcnt(0)
	s_waitcnt_vscnt null, 0x0
	s_barrier
.LBB4_311:                              ;   in Loop: Header=BB4_107 Depth=1
	s_or_b32 exec_lo, exec_lo, s17
	v_and_b32_e32 v1, 16, v50
.LBB4_312:                              ;   in Loop: Header=BB4_107 Depth=1
	s_or_b32 exec_lo, exec_lo, s16
	s_delay_alu instid0(VALU_DEP_1) | instskip(SKIP_1) | instid1(SALU_CYCLE_1)
	v_cmp_ne_u32_e32 vcc_lo, 0, v1
	s_xor_b32 s16, s12, -1
	s_and_b32 s17, vcc_lo, s16
	s_delay_alu instid0(SALU_CYCLE_1)
	s_and_saveexec_b32 s16, s17
	s_cbranch_execz .LBB4_314
; %bb.313:                              ;   in Loop: Header=BB4_107 Depth=1
	s_waitcnt lgkmcnt(0)
	s_waitcnt_vscnt null, 0x0
	flat_store_b32 v[24:25], v98
.LBB4_314:                              ;   in Loop: Header=BB4_107 Depth=1
	s_or_b32 exec_lo, exec_lo, s16
	v_and_b32_e32 v1, 48, v50
	s_mov_b32 s16, exec_lo
	s_delay_alu instid0(VALU_DEP_1)
	v_cmpx_ne_u32_e32 0, v1
	s_cbranch_execz .LBB4_316
; %bb.315:                              ;   in Loop: Header=BB4_107 Depth=1
	v_add_co_u32 v8, vcc_lo, v8, 1
	v_add_co_ci_u32_e32 v9, vcc_lo, 0, v9, vcc_lo
	s_waitcnt lgkmcnt(0)
	s_waitcnt_vscnt null, 0x0
	flat_store_b64 v[20:21], v[8:9]
.LBB4_316:                              ;   in Loop: Header=BB4_107 Depth=1
	s_or_b32 exec_lo, exec_lo, s16
	v_mov_b32_e32 v12, v38
.LBB4_317:                              ;   in Loop: Header=BB4_107 Depth=1
	s_or_b32 exec_lo, exec_lo, vcc_hi
	s_mov_b32 s16, 0
	s_and_saveexec_b32 s17, s14
	s_cbranch_execz .LBB4_399
; %bb.318:                              ;   in Loop: Header=BB4_107 Depth=1
	v_and_b32_e32 v1, 12, v50
	s_mov_b32 s18, -1
	s_mov_b32 s16, exec_lo
	s_delay_alu instid0(VALU_DEP_1)
	v_cmpx_ne_u32_e32 0, v1
	s_cbranch_execz .LBB4_332
; %bb.319:                              ;   in Loop: Header=BB4_107 Depth=1
	v_and_b32_e32 v1, 8, v50
	v_mov_b32_e32 v13, 1
	s_mov_b32 s18, exec_lo
	s_delay_alu instid0(VALU_DEP_2) | instskip(SKIP_3) | instid1(VALU_DEP_1)
	v_add_co_u32 v48, vcc_lo, v28, v1
	v_add_co_ci_u32_e32 v49, vcc_lo, 0, v29, vcc_lo
	v_add_co_u32 v10, vcc_lo, v8, 1
	v_add_co_ci_u32_e32 v11, vcc_lo, 0, v9, vcc_lo
	v_cmpx_lt_u64_e64 v[48:49], v[10:11]
	s_cbranch_execz .LBB4_331
; %bb.320:                              ;   in Loop: Header=BB4_107 Depth=1
	v_mov_b32_e32 v13, 0
	s_mov_b32 s19, 0
                                        ; implicit-def: $vcc_hi
	s_branch .LBB4_324
.LBB4_321:                              ;   in Loop: Header=BB4_324 Depth=2
	s_or_b32 exec_lo, exec_lo, s35
	v_mov_b32_e32 v39, 0
	s_or_not1_b32 s34, s34, exec_lo
.LBB4_322:                              ;   in Loop: Header=BB4_324 Depth=2
	s_or_b32 exec_lo, exec_lo, s31
	s_delay_alu instid0(VALU_DEP_1) | instskip(SKIP_2) | instid1(SALU_CYCLE_1)
	v_mov_b32_e32 v13, v39
	s_and_not1_b32 vcc_lo, vcc_hi, exec_lo
	s_and_b32 vcc_hi, s34, exec_lo
	s_or_b32 vcc_hi, vcc_lo, vcc_hi
.LBB4_323:                              ;   in Loop: Header=BB4_324 Depth=2
	s_or_b32 exec_lo, exec_lo, s30
	s_waitcnt vmcnt(0) lgkmcnt(0)
	v_add_co_u32 v48, vcc_lo, v28, v1
	v_add_co_ci_u32_e32 v49, vcc_lo, 0, v29, vcc_lo
	s_delay_alu instid0(VALU_DEP_1) | instskip(SKIP_1) | instid1(SALU_CYCLE_1)
	v_cmp_ge_u64_e32 vcc_lo, v[48:49], v[10:11]
	s_xor_b32 s30, vcc_hi, -1
	s_or_b32 vcc_lo, s30, vcc_lo
	s_delay_alu instid0(SALU_CYCLE_1) | instskip(NEXT) | instid1(SALU_CYCLE_1)
	s_and_b32 vcc_lo, exec_lo, vcc_lo
	s_or_b32 s19, vcc_lo, s19
	s_delay_alu instid0(SALU_CYCLE_1)
	s_and_not1_b32 exec_lo, exec_lo, s19
	s_cbranch_execz .LBB4_330
.LBB4_324:                              ;   Parent Loop BB4_107 Depth=1
                                        ; =>  This Inner Loop Header: Depth=2
	s_sleep 1
	flat_load_b64 v[28:29], v[20:21] glc
	v_and_b32_e32 v39, 64, v50
	s_and_not1_b32 vcc_hi, vcc_hi, exec_lo
	s_mov_b32 s30, exec_lo
	s_delay_alu instid0(VALU_DEP_1)
	v_cmpx_eq_u32_e32 0, v39
	s_cbranch_execz .LBB4_323
; %bb.325:                              ;   in Loop: Header=BB4_324 Depth=2
	v_add_nc_u32_e32 v39, 1, v13
	s_mov_b32 s34, -1
	s_mov_b32 s31, exec_lo
	v_cmpx_lt_i32_e32 0x270e, v13
	s_cbranch_execz .LBB4_322
; %bb.326:                              ;   in Loop: Header=BB4_324 Depth=2
	s_cbranch_execnz .LBB4_1231
; %bb.327:                              ;   in Loop: Header=BB4_324 Depth=2
	ds_load_b64 v[48:49], v0
	s_mov_b32 s35, exec_lo
	s_waitcnt vmcnt(0) lgkmcnt(0)
	s_waitcnt_vscnt null, 0x0
	flat_load_b32 v13, v[48:49] glc
	s_waitcnt vmcnt(0) lgkmcnt(0)
	buffer_gl1_inv
	buffer_gl0_inv
	v_cmpx_ne_u32_e32 0, v13
	s_cbranch_execz .LBB4_321
; %bb.328:                              ;   in Loop: Header=BB4_324 Depth=2
	ds_store_b32 v0, v13
	s_cbranch_execnz .LBB4_1276
; %bb.329:                              ;   in Loop: Header=BB4_324 Depth=2
	v_or_b32_e32 v50, 64, v50
	s_xor_b32 s34, exec_lo, -1
	s_branch .LBB4_321
.LBB4_330:                              ;   in Loop: Header=BB4_107 Depth=1
	s_or_b32 exec_lo, exec_lo, s19
	v_and_b32_e32 v13, 12, v50
.LBB4_331:                              ;   in Loop: Header=BB4_107 Depth=1
	s_or_b32 exec_lo, exec_lo, s18
	s_delay_alu instid0(VALU_DEP_1)
	v_cmp_eq_u32_e32 vcc_lo, 0, v13
	;;#ASMSTART
	s_wakeup
	;;#ASMEND
	s_or_not1_b32 s18, vcc_lo, exec_lo
.LBB4_332:                              ;   in Loop: Header=BB4_107 Depth=1
	s_or_b32 exec_lo, exec_lo, s16
	v_sub_nc_u32_e32 v1, v99, v12
	s_xor_b32 s16, s18, -1
	s_delay_alu instid0(VALU_DEP_1)
	v_min_i32_e32 v10, v38, v1
	s_and_saveexec_b32 s18, s16
	s_cbranch_execz .LBB4_347
; %bb.333:                              ;   in Loop: Header=BB4_107 Depth=1
	v_and_b32_e32 v1, 0x108, v50
	s_mov_b32 s16, exec_lo
	s_delay_alu instid0(VALU_DEP_1)
	v_cmpx_ne_u32_e32 0x108, v1
	s_xor_b32 s16, exec_lo, s16
                                        ; implicit-def: $vgpr12_vgpr13
; %bb.334:                              ;   in Loop: Header=BB4_107 Depth=1
	v_and_b32_e32 v12, 7, v8
; %bb.335:                              ;   in Loop: Header=BB4_107 Depth=1
	s_and_not1_saveexec_b32 s16, s16
	s_cbranch_execz .LBB4_337
; %bb.336:                              ;   in Loop: Header=BB4_107 Depth=1
	v_and_b32_e32 v12, 7, v8
	v_ashrrev_i32_e32 v11, 31, v10
	s_delay_alu instid0(VALU_DEP_2)
	v_mad_u64_u32 v[38:39], null, v12, 24, v[6:7]
	flat_store_b64 v[38:39], v[10:11] offset:8
.LBB4_337:                              ;   in Loop: Header=BB4_107 Depth=1
	s_or_b32 exec_lo, exec_lo, s16
	v_and_b32_e32 v1, 0x100, v50
	s_mov_b32 s16, -1
	s_mov_b32 s19, exec_lo
                                        ; implicit-def: $vgpr38_vgpr39
	s_delay_alu instid0(VALU_DEP_1)
	v_cmpx_ne_u32_e32 0, v1
	s_cbranch_execnz .LBB4_340
; %bb.338:                              ;   in Loop: Header=BB4_107 Depth=1
	s_or_b32 exec_lo, exec_lo, s19
	s_and_saveexec_b32 s19, s16
	s_cbranch_execnz .LBB4_343
.LBB4_339:                              ;   in Loop: Header=BB4_107 Depth=1
	s_or_b32 exec_lo, exec_lo, s19
	s_cbranch_execnz .LBB4_1227
	s_branch .LBB4_344
.LBB4_340:                              ;   in Loop: Header=BB4_107 Depth=1
	v_mad_u64_u32 v[48:49], null, v12, 24, v[6:7]
	s_delay_alu instid0(VALU_DEP_1) | instskip(NEXT) | instid1(VALU_DEP_1)
	v_mov_b32_e32 v1, v49
	v_mad_u64_u32 v[38:39], null, v2, 24, v[1:2]
	s_delay_alu instid0(VALU_DEP_1)
	v_mov_b32_e32 v49, v38
                                        ; implicit-def: $vgpr38_vgpr39
	flat_load_b32 v1, v[48:49]
	s_waitcnt vmcnt(0) lgkmcnt(0)
	v_cmp_ne_u32_e32 vcc_lo, 1, v1
	s_mov_b32 vcc_hi, exec_lo
	v_cmpx_eq_u32_e32 1, v1
	s_cbranch_execz .LBB4_342
; %bb.341:                              ;   in Loop: Header=BB4_107 Depth=1
	flat_load_b32 v38, v[48:49] offset:4 glc
	s_waitcnt vmcnt(0) lgkmcnt(0)
	v_ashrrev_i32_e32 v39, 31, v38
.LBB4_342:                              ;   in Loop: Header=BB4_107 Depth=1
	s_or_b32 exec_lo, exec_lo, vcc_hi
	s_delay_alu instid0(SALU_CYCLE_1)
	s_or_not1_b32 s16, vcc_lo, exec_lo
	s_or_b32 exec_lo, exec_lo, s19
	s_and_saveexec_b32 s19, s16
	s_cbranch_execz .LBB4_339
.LBB4_343:                              ;   in Loop: Header=BB4_107 Depth=1
	v_mul_lo_u32 v1, v2, v51
	v_mul_lo_u32 v11, v12, v53
	v_mad_u64_u32 v[38:39], null, v12, v51, 0
	s_delay_alu instid0(VALU_DEP_1)
	v_add3_u32 v39, v39, v11, v1
	s_or_b32 exec_lo, exec_lo, s19
	s_cbranch_execnz .LBB4_1227
.LBB4_344:                              ;   in Loop: Header=BB4_107 Depth=1
	s_delay_alu instid0(VALU_DEP_2)
	v_add_co_u32 v11, vcc_lo, v22, v38
	v_and_b32_e32 v1, 0x2000, v50
	v_add_co_ci_u32_e32 v12, vcc_lo, v23, v39, vcc_lo
	s_mov_b32 s16, exec_lo
	ds_store_b64 v0, v[11:12]
	v_cmpx_ne_u32_e32 0, v1
	s_cbranch_execz .LBB4_346
; %bb.345:                              ;   in Loop: Header=BB4_107 Depth=1
	ds_load_b64 v[11:12], v0 offset:584
	s_waitcnt lgkmcnt(0)
	v_add_co_u32 v11, vcc_lo, v11, 1
	v_add_co_ci_u32_e32 v12, vcc_lo, 0, v12, vcc_lo
	ds_store_b64 v0, v[11:12] offset:584
.LBB4_346:                              ;   in Loop: Header=BB4_107 Depth=1
	s_or_b32 exec_lo, exec_lo, s16
	v_add_co_u32 v8, vcc_lo, v8, 1
	v_add_co_ci_u32_e32 v9, vcc_lo, 0, v9, vcc_lo
.LBB4_347:                              ;   in Loop: Header=BB4_107 Depth=1
	s_or_b32 exec_lo, exec_lo, s18
	s_and_saveexec_b32 s16, s3
	s_cbranch_execz .LBB4_369
; %bb.348:                              ;   in Loop: Header=BB4_107 Depth=1
	s_and_saveexec_b32 s18, s4
	s_delay_alu instid0(SALU_CYCLE_1)
	s_xor_b32 s18, exec_lo, s18
	s_cbranch_execz .LBB4_366
; %bb.349:                              ;   in Loop: Header=BB4_107 Depth=1
	s_and_saveexec_b32 s19, s5
	s_cbranch_execz .LBB4_365
; %bb.350:                              ;   in Loop: Header=BB4_107 Depth=1
	s_mov_b32 s30, exec_lo
	s_mov_b32 vcc_hi, exec_lo
	v_mbcnt_lo_u32_b32 v1, s30, 0
	s_waitcnt lgkmcnt(0)
	s_waitcnt_vscnt null, 0x0
	buffer_gl1_inv
	buffer_gl0_inv
	v_cmpx_eq_u32_e32 0, v1
	s_cbranch_execz .LBB4_352
; %bb.351:                              ;   in Loop: Header=BB4_107 Depth=1
	s_bcnt1_i32_b32 vcc_lo, s30
	s_delay_alu instid0(SALU_CYCLE_1)
	v_mov_b32_e32 v1, vcc_lo
	ds_add_u64 v0, v[1:2]
	s_cbranch_execnz .LBB4_1320
.LBB4_352:                              ;   in Loop: Header=BB4_107 Depth=1
	s_or_b32 exec_lo, exec_lo, vcc_hi
	s_cbranch_execnz .LBB4_1298
; %bb.353:                              ;   in Loop: Header=BB4_107 Depth=1
	ds_load_b64 v[11:12], v0
	v_add_co_u32 v26, vcc_lo, v26, v54
	v_add_co_ci_u32_e32 v27, vcc_lo, 0, v27, vcc_lo
	s_mov_b32 vcc_hi, exec_lo
	s_waitcnt lgkmcnt(0)
	s_delay_alu instid0(VALU_DEP_1)
	v_cmpx_lt_u64_e64 v[11:12], v[26:27]
	s_cbranch_execz .LBB4_364
; %bb.354:                              ;   in Loop: Header=BB4_107 Depth=1
	s_mov_b32 s30, 0
	s_mov_b32 s35, 0
                                        ; implicit-def: $sgpr31
                                        ; implicit-def: $sgpr34
	s_branch .LBB4_356
.LBB4_355:                              ;   in Loop: Header=BB4_356 Depth=2
	s_or_b32 exec_lo, exec_lo, s37
	s_delay_alu instid0(SALU_CYCLE_1) | instskip(NEXT) | instid1(SALU_CYCLE_1)
	s_and_b32 vcc_lo, exec_lo, vcc_lo
	s_or_b32 s30, vcc_lo, s30
	s_and_not1_b32 vcc_lo, s31, exec_lo
	s_and_b32 s31, s34, exec_lo
	s_delay_alu instid0(SALU_CYCLE_1)
	s_or_b32 s31, vcc_lo, s31
	s_and_not1_b32 exec_lo, exec_lo, s30
	s_cbranch_execz .LBB4_362
.LBB4_356:                              ;   Parent Loop BB4_107 Depth=1
                                        ; =>  This Inner Loop Header: Depth=2
	s_add_i32 s35, s35, 1
                                        ; implicit-def: $sgpr37
	s_delay_alu instid0(SALU_CYCLE_1) | instskip(SKIP_1) | instid1(SALU_CYCLE_1)
	s_cmpk_lg_i32 s35, 0x2710
	s_cselect_b32 s36, -1, 0
	s_and_b32 vcc_lo, exec_lo, s36
	s_cbranch_vccz .LBB4_360
.LBB4_357:                              ;   in Loop: Header=BB4_356 Depth=2
	s_and_not1_b32 s34, s34, exec_lo
	s_and_b32 s37, s37, exec_lo
	s_mov_b32 vcc_lo, -1
	s_or_b32 s34, s34, s37
	s_and_saveexec_b32 s37, s36
	s_cbranch_execz .LBB4_355
; %bb.358:                              ;   in Loop: Header=BB4_356 Depth=2
	s_sleep 1
	s_cbranch_execnz .LBB4_1372
; %bb.359:                              ;   in Loop: Header=BB4_356 Depth=2
	ds_load_b64 v[11:12], v0
	s_and_not1_b32 s34, s34, exec_lo
	s_waitcnt lgkmcnt(0)
	v_cmp_ge_u64_e32 vcc_lo, v[11:12], v[26:27]
	s_or_not1_b32 vcc_lo, vcc_lo, exec_lo
	s_branch .LBB4_355
.LBB4_360:                              ;   in Loop: Header=BB4_356 Depth=2
	s_cbranch_execnz .LBB4_1386
; %bb.361:                              ;   in Loop: Header=BB4_356 Depth=2
	ds_load_b64 v[11:12], v0
	s_and_not1_b32 s36, s36, exec_lo
	s_mov_b32 s35, 0
	s_mov_b32 s37, -1
	s_waitcnt lgkmcnt(0)
	flat_load_b32 v1, v[11:12] glc
	s_waitcnt vmcnt(0) lgkmcnt(0)
	buffer_gl1_inv
	buffer_gl0_inv
	v_cmp_eq_u32_e32 vcc_lo, 0, v1
	s_and_b32 vcc_lo, vcc_lo, exec_lo
	s_delay_alu instid0(SALU_CYCLE_1)
	s_or_b32 s36, s36, vcc_lo
	s_branch .LBB4_357
.LBB4_362:                              ;   in Loop: Header=BB4_107 Depth=1
	s_or_b32 exec_lo, exec_lo, s30
	s_and_saveexec_b32 vcc_lo, s31
	s_delay_alu instid0(SALU_CYCLE_1)
	s_xor_b32 vcc_lo, exec_lo, vcc_lo
	s_cbranch_execz .LBB4_364
; %bb.363:                              ;   in Loop: Header=BB4_107 Depth=1
	ds_store_b32 v0, v98
	s_cbranch_execnz .LBB4_1553
.LBB4_364:                              ;   in Loop: Header=BB4_107 Depth=1
	s_or_b32 exec_lo, exec_lo, vcc_hi
	;;#ASMSTART
	s_wakeup
	;;#ASMEND
.LBB4_365:                              ;   in Loop: Header=BB4_107 Depth=1
	s_or_b32 exec_lo, exec_lo, s19
.LBB4_366:                              ;   in Loop: Header=BB4_107 Depth=1
	s_and_not1_saveexec_b32 s18, s18
	s_cbranch_execz .LBB4_368
; %bb.367:                              ;   in Loop: Header=BB4_107 Depth=1
	s_waitcnt lgkmcnt(0)
	s_waitcnt_vscnt null, 0x0
	buffer_gl1_inv
	buffer_gl0_inv
	s_barrier
.LBB4_368:                              ;   in Loop: Header=BB4_107 Depth=1
	s_or_b32 exec_lo, exec_lo, s18
.LBB4_369:                              ;   in Loop: Header=BB4_107 Depth=1
	s_delay_alu instid0(SALU_CYCLE_1) | instskip(SKIP_1) | instid1(SALU_CYCLE_1)
	s_or_b32 exec_lo, exec_lo, s16
                                        ; implicit-def: $vgpr1
	s_and_saveexec_b32 s16, s11
	s_xor_b32 s18, exec_lo, s16
	s_cbranch_execz .LBB4_374
; %bb.370:                              ;   in Loop: Header=BB4_107 Depth=1
	s_cbranch_execnz .LBB4_1243
; %bb.371:                              ;   in Loop: Header=BB4_107 Depth=1
	ds_load_b32 v1, v0
	v_cmp_lt_i32_e32 vcc_lo, 0, v10
	s_waitcnt lgkmcnt(0)
	v_readfirstlane_b32 s16, v1
	v_and_b32_e32 v1, 16, v50
	s_delay_alu instid0(VALU_DEP_2) | instskip(NEXT) | instid1(VALU_DEP_1)
	s_cmp_eq_u32 s16, 0
	v_cmp_ne_u32_e64 s16, 0, v1
	s_cselect_b32 s19, -1, 0
	v_and_b32_e32 v1, 16, v50
	s_and_b32 s19, vcc_lo, s19
	s_delay_alu instid0(VALU_DEP_2) | instid1(SALU_CYCLE_1)
	s_and_b32 s19, s16, s19
	s_delay_alu instid0(SALU_CYCLE_1)
	s_and_saveexec_b32 s16, s19
	s_cbranch_execz .LBB4_373
; %bb.372:                              ;   in Loop: Header=BB4_107 Depth=1
	v_mov_b32_e32 v1, 1
	s_waitcnt_vscnt null, 0x0
	buffer_gl1_inv
	buffer_gl0_inv
.LBB4_373:                              ;   in Loop: Header=BB4_107 Depth=1
	s_or_b32 exec_lo, exec_lo, s16
.LBB4_374:                              ;   in Loop: Header=BB4_107 Depth=1
	s_and_not1_saveexec_b32 s16, s18
	s_cbranch_execz .LBB4_396
; %bb.375:                              ;   in Loop: Header=BB4_107 Depth=1
	s_and_saveexec_b32 s18, s4
	s_delay_alu instid0(SALU_CYCLE_1)
	s_xor_b32 s18, exec_lo, s18
	s_cbranch_execz .LBB4_393
; %bb.376:                              ;   in Loop: Header=BB4_107 Depth=1
	s_and_saveexec_b32 s19, s5
	s_cbranch_execz .LBB4_392
; %bb.377:                              ;   in Loop: Header=BB4_107 Depth=1
	s_mov_b32 s30, exec_lo
	s_mov_b32 vcc_hi, exec_lo
	v_mbcnt_lo_u32_b32 v1, s30, 0
	;;#ASMSTART
	s_waitcnt lgkmcnt(0) vmcnt(0)
	;;#ASMEND
	s_delay_alu instid0(VALU_DEP_1)
	v_cmpx_eq_u32_e32 0, v1
	s_cbranch_execz .LBB4_379
; %bb.378:                              ;   in Loop: Header=BB4_107 Depth=1
	s_bcnt1_i32_b32 vcc_lo, s30
	s_delay_alu instid0(SALU_CYCLE_1)
	v_mov_b32_e32 v1, vcc_lo
	ds_add_u64 v0, v[1:2]
	s_cbranch_execnz .LBB4_1340
.LBB4_379:                              ;   in Loop: Header=BB4_107 Depth=1
	s_or_b32 exec_lo, exec_lo, vcc_hi
	s_cbranch_execnz .LBB4_1316
; %bb.380:                              ;   in Loop: Header=BB4_107 Depth=1
	ds_load_b64 v[10:11], v0
	v_add_co_u32 v26, vcc_lo, v26, v54
	v_add_co_ci_u32_e32 v27, vcc_lo, 0, v27, vcc_lo
	s_mov_b32 vcc_hi, exec_lo
	s_waitcnt lgkmcnt(0)
	s_delay_alu instid0(VALU_DEP_1)
	v_cmpx_lt_u64_e64 v[10:11], v[26:27]
	s_cbranch_execz .LBB4_391
; %bb.381:                              ;   in Loop: Header=BB4_107 Depth=1
	s_mov_b32 s30, 0
	s_mov_b32 s35, 0
                                        ; implicit-def: $sgpr31
                                        ; implicit-def: $sgpr34
	s_branch .LBB4_383
.LBB4_382:                              ;   in Loop: Header=BB4_383 Depth=2
	s_or_b32 exec_lo, exec_lo, s37
	s_delay_alu instid0(SALU_CYCLE_1) | instskip(NEXT) | instid1(SALU_CYCLE_1)
	s_and_b32 vcc_lo, exec_lo, vcc_lo
	s_or_b32 s30, vcc_lo, s30
	s_and_not1_b32 vcc_lo, s31, exec_lo
	s_and_b32 s31, s34, exec_lo
	s_delay_alu instid0(SALU_CYCLE_1)
	s_or_b32 s31, vcc_lo, s31
	s_and_not1_b32 exec_lo, exec_lo, s30
	s_cbranch_execz .LBB4_389
.LBB4_383:                              ;   Parent Loop BB4_107 Depth=1
                                        ; =>  This Inner Loop Header: Depth=2
	s_add_i32 s35, s35, 1
                                        ; implicit-def: $sgpr37
	s_delay_alu instid0(SALU_CYCLE_1) | instskip(SKIP_1) | instid1(SALU_CYCLE_1)
	s_cmpk_lg_i32 s35, 0x2710
	s_cselect_b32 s36, -1, 0
	s_and_b32 vcc_lo, exec_lo, s36
	s_cbranch_vccz .LBB4_387
.LBB4_384:                              ;   in Loop: Header=BB4_383 Depth=2
	s_and_not1_b32 s34, s34, exec_lo
	s_and_b32 s37, s37, exec_lo
	s_mov_b32 vcc_lo, -1
	s_or_b32 s34, s34, s37
	s_and_saveexec_b32 s37, s36
	s_cbranch_execz .LBB4_382
; %bb.385:                              ;   in Loop: Header=BB4_383 Depth=2
	s_sleep 1
	s_cbranch_execnz .LBB4_1404
; %bb.386:                              ;   in Loop: Header=BB4_383 Depth=2
	ds_load_b64 v[10:11], v0
	s_and_not1_b32 s34, s34, exec_lo
	s_waitcnt lgkmcnt(0)
	v_cmp_ge_u64_e32 vcc_lo, v[10:11], v[26:27]
	s_or_not1_b32 vcc_lo, vcc_lo, exec_lo
	s_branch .LBB4_382
.LBB4_387:                              ;   in Loop: Header=BB4_383 Depth=2
	s_cbranch_execnz .LBB4_1441
; %bb.388:                              ;   in Loop: Header=BB4_383 Depth=2
	ds_load_b64 v[10:11], v0
	s_and_not1_b32 s36, s36, exec_lo
	s_mov_b32 s35, 0
	s_mov_b32 s37, -1
	s_waitcnt lgkmcnt(0)
	s_waitcnt_vscnt null, 0x0
	flat_load_b32 v1, v[10:11] glc
	s_waitcnt vmcnt(0) lgkmcnt(0)
	buffer_gl1_inv
	buffer_gl0_inv
	v_cmp_eq_u32_e32 vcc_lo, 0, v1
	s_and_b32 vcc_lo, vcc_lo, exec_lo
	s_delay_alu instid0(SALU_CYCLE_1)
	s_or_b32 s36, s36, vcc_lo
	s_branch .LBB4_384
.LBB4_389:                              ;   in Loop: Header=BB4_107 Depth=1
	s_or_b32 exec_lo, exec_lo, s30
	s_and_saveexec_b32 vcc_lo, s31
	s_delay_alu instid0(SALU_CYCLE_1)
	s_xor_b32 vcc_lo, exec_lo, vcc_lo
	s_cbranch_execz .LBB4_391
; %bb.390:                              ;   in Loop: Header=BB4_107 Depth=1
	ds_store_b32 v0, v98
	s_cbranch_execnz .LBB4_1563
.LBB4_391:                              ;   in Loop: Header=BB4_107 Depth=1
	s_or_b32 exec_lo, exec_lo, vcc_hi
	;;#ASMSTART
	s_wakeup
	;;#ASMEND
.LBB4_392:                              ;   in Loop: Header=BB4_107 Depth=1
	s_or_b32 exec_lo, exec_lo, s19
.LBB4_393:                              ;   in Loop: Header=BB4_107 Depth=1
	s_and_not1_saveexec_b32 s18, s18
	s_cbranch_execz .LBB4_395
; %bb.394:                              ;   in Loop: Header=BB4_107 Depth=1
	;;#ASMSTART
	s_waitcnt lgkmcnt(0) vmcnt(0)
	;;#ASMEND
	s_waitcnt lgkmcnt(0)
	s_waitcnt_vscnt null, 0x0
	s_barrier
.LBB4_395:                              ;   in Loop: Header=BB4_107 Depth=1
	s_or_b32 exec_lo, exec_lo, s18
	v_and_b32_e32 v1, 16, v50
.LBB4_396:                              ;   in Loop: Header=BB4_107 Depth=1
	s_or_b32 exec_lo, exec_lo, s16
	s_delay_alu instid0(VALU_DEP_1) | instskip(SKIP_1) | instid1(SALU_CYCLE_1)
	v_cmp_ne_u32_e32 vcc_lo, 0, v1
	s_xor_b32 s16, s12, -1
	s_and_b32 s18, vcc_lo, s16
	s_delay_alu instid0(SALU_CYCLE_1)
	s_and_saveexec_b32 s16, s18
	s_cbranch_execz .LBB4_398
; %bb.397:                              ;   in Loop: Header=BB4_107 Depth=1
	s_waitcnt lgkmcnt(0)
	s_waitcnt_vscnt null, 0x0
	flat_store_b32 v[24:25], v98
.LBB4_398:                              ;   in Loop: Header=BB4_107 Depth=1
	s_or_b32 exec_lo, exec_lo, s16
	v_and_b32_e32 v1, 48, v50
	s_delay_alu instid0(VALU_DEP_1)
	v_cmp_ne_u32_e32 vcc_lo, 0, v1
	s_and_b32 s16, vcc_lo, exec_lo
.LBB4_399:                              ;   in Loop: Header=BB4_107 Depth=1
	s_or_b32 exec_lo, exec_lo, s17
	s_delay_alu instid0(SALU_CYCLE_1)
	s_and_b32 s18, s16, exec_lo
                                        ; implicit-def: $vgpr38
                                        ; implicit-def: $vgpr99
                                        ; implicit-def: $vgpr1
                                        ; implicit-def: $vgpr10
.LBB4_400:                              ;   in Loop: Header=BB4_107 Depth=1
	s_and_not1_saveexec_b32 s19, s28
	s_cbranch_execz .LBB4_635
; %bb.401:                              ;   in Loop: Header=BB4_107 Depth=1
	v_mov_b32_e32 v39, 0
	s_and_saveexec_b32 s28, s15
	s_cbranch_execz .LBB4_559
; %bb.402:                              ;   in Loop: Header=BB4_107 Depth=1
	s_and_saveexec_b32 s17, s0
	s_cbranch_execz .LBB4_405
; %bb.403:                              ;   in Loop: Header=BB4_107 Depth=1
	s_cbranch_execnz .LBB4_1181
; %bb.404:                              ;   in Loop: Header=BB4_107 Depth=1
	ds_load_b128 v[100:103], v0
	s_waitcnt lgkmcnt(0)
	v_add_co_u32 v13, vcc_lo, v102, v1
	v_add_co_ci_u32_e32 v39, vcc_lo, v103, v10, vcc_lo
	v_cmp_ne_u64_e32 vcc_lo, 0, v[102:103]
	v_add_co_u32 v11, s16, v100, v1
	s_delay_alu instid0(VALU_DEP_1) | instskip(NEXT) | instid1(VALU_DEP_4)
	v_add_co_ci_u32_e64 v12, s16, v101, v10, s16
	v_dual_cndmask_b32 v49, 0, v39 :: v_dual_cndmask_b32 v48, 0, v13
	ds_store_b64 v0, v[11:12]
	ds_store_b64 v0, v[48:49]
.LBB4_405:                              ;   in Loop: Header=BB4_107 Depth=1
	s_or_b32 exec_lo, exec_lo, s17
	v_and_b32_e32 v1, 4, v50
	s_mov_b32 s17, -1
	s_mov_b32 s16, exec_lo
	s_delay_alu instid0(VALU_DEP_1)
	v_cmpx_ne_u32_e32 0, v1
	s_cbranch_execz .LBB4_419
; %bb.406:                              ;   in Loop: Header=BB4_107 Depth=1
	v_add_co_u32 v10, vcc_lo, v8, 1
	v_add_co_ci_u32_e32 v11, vcc_lo, 0, v9, vcc_lo
	v_mov_b32_e32 v1, 1
	s_mov_b32 s17, exec_lo
	s_delay_alu instid0(VALU_DEP_2)
	v_cmpx_lt_u64_e64 v[28:29], v[10:11]
	s_cbranch_execz .LBB4_418
; %bb.407:                              ;   in Loop: Header=BB4_107 Depth=1
	v_mov_b32_e32 v1, 0
	s_mov_b32 vcc_hi, 0
                                        ; implicit-def: $sgpr30
	s_branch .LBB4_411
.LBB4_408:                              ;   in Loop: Header=BB4_411 Depth=2
	s_or_b32 exec_lo, exec_lo, s36
	v_mov_b32_e32 v12, 0
	s_or_not1_b32 s35, s35, exec_lo
.LBB4_409:                              ;   in Loop: Header=BB4_411 Depth=2
	s_or_b32 exec_lo, exec_lo, s34
	s_delay_alu instid0(VALU_DEP_1) | instskip(SKIP_2) | instid1(SALU_CYCLE_1)
	v_mov_b32_e32 v1, v12
	s_and_not1_b32 vcc_lo, s30, exec_lo
	s_and_b32 s30, s35, exec_lo
	s_or_b32 s30, vcc_lo, s30
.LBB4_410:                              ;   in Loop: Header=BB4_411 Depth=2
	s_or_b32 exec_lo, exec_lo, s31
	s_waitcnt vmcnt(0) lgkmcnt(0)
	v_cmp_ge_u64_e32 vcc_lo, v[28:29], v[10:11]
	s_xor_b32 s31, s30, -1
	s_delay_alu instid0(SALU_CYCLE_1) | instskip(NEXT) | instid1(SALU_CYCLE_1)
	s_or_b32 vcc_lo, s31, vcc_lo
	s_and_b32 vcc_lo, exec_lo, vcc_lo
	s_delay_alu instid0(SALU_CYCLE_1) | instskip(NEXT) | instid1(SALU_CYCLE_1)
	s_or_b32 vcc_hi, vcc_lo, vcc_hi
	s_and_not1_b32 exec_lo, exec_lo, vcc_hi
	s_cbranch_execz .LBB4_417
.LBB4_411:                              ;   Parent Loop BB4_107 Depth=1
                                        ; =>  This Inner Loop Header: Depth=2
	s_sleep 1
	flat_load_b64 v[28:29], v[20:21] glc
	v_and_b32_e32 v12, 64, v50
	s_and_not1_b32 s30, s30, exec_lo
	s_mov_b32 s31, exec_lo
	s_delay_alu instid0(VALU_DEP_1)
	v_cmpx_eq_u32_e32 0, v12
	s_cbranch_execz .LBB4_410
; %bb.412:                              ;   in Loop: Header=BB4_411 Depth=2
	v_add_nc_u32_e32 v12, 1, v1
	s_mov_b32 s35, -1
	s_mov_b32 s34, exec_lo
	v_cmpx_lt_i32_e32 0x270e, v1
	s_cbranch_execz .LBB4_409
; %bb.413:                              ;   in Loop: Header=BB4_411 Depth=2
	s_cbranch_execnz .LBB4_1237
; %bb.414:                              ;   in Loop: Header=BB4_411 Depth=2
	ds_load_b64 v[12:13], v0
	s_mov_b32 s36, exec_lo
	s_waitcnt vmcnt(0) lgkmcnt(0)
	s_waitcnt_vscnt null, 0x0
	flat_load_b32 v1, v[12:13] glc
	s_waitcnt vmcnt(0) lgkmcnt(0)
	buffer_gl1_inv
	buffer_gl0_inv
	v_cmpx_ne_u32_e32 0, v1
	s_cbranch_execz .LBB4_408
; %bb.415:                              ;   in Loop: Header=BB4_411 Depth=2
	ds_store_b32 v0, v1
	s_cbranch_execnz .LBB4_1282
; %bb.416:                              ;   in Loop: Header=BB4_411 Depth=2
	v_or_b32_e32 v50, 64, v50
	s_xor_b32 s35, exec_lo, -1
	s_branch .LBB4_408
.LBB4_417:                              ;   in Loop: Header=BB4_107 Depth=1
	s_or_b32 exec_lo, exec_lo, vcc_hi
	v_and_b32_e32 v1, 4, v50
.LBB4_418:                              ;   in Loop: Header=BB4_107 Depth=1
	s_or_b32 exec_lo, exec_lo, s17
	s_delay_alu instid0(VALU_DEP_1)
	v_cmp_eq_u32_e32 vcc_lo, 0, v1
	;;#ASMSTART
	s_wakeup
	;;#ASMEND
	s_or_not1_b32 s17, vcc_lo, exec_lo
.LBB4_419:                              ;   in Loop: Header=BB4_107 Depth=1
	s_or_b32 exec_lo, exec_lo, s16
	s_xor_b32 s16, s17, -1
	s_delay_alu instid0(SALU_CYCLE_1)
	s_and_saveexec_b32 s17, s16
	s_cbranch_execz .LBB4_429
; %bb.420:                              ;   in Loop: Header=BB4_107 Depth=1
	v_and_b32_e32 v1, 0x100, v50
	s_mov_b32 s16, -1
                                        ; implicit-def: $vgpr10_vgpr11
	s_delay_alu instid0(VALU_DEP_1)
	v_cmp_ne_u32_e32 vcc_lo, 0, v1
	v_and_b32_e32 v1, 7, v8
	s_and_saveexec_b32 vcc_hi, vcc_lo
	s_cbranch_execz .LBB4_424
; %bb.421:                              ;   in Loop: Header=BB4_107 Depth=1
	s_delay_alu instid0(VALU_DEP_1) | instskip(SKIP_4) | instid1(VALU_DEP_1)
	v_mad_u64_u32 v[12:13], null, v1, 24, v[6:7]
	flat_load_b32 v10, v[12:13]
	s_waitcnt vmcnt(0) lgkmcnt(0)
	v_cmp_ne_u32_e32 vcc_lo, 1, v10
	v_cmp_eq_u32_e64 s16, 1, v10
                                        ; implicit-def: $vgpr10_vgpr11
	s_and_saveexec_b32 s30, s16
	s_cbranch_execz .LBB4_423
; %bb.422:                              ;   in Loop: Header=BB4_107 Depth=1
	flat_load_b32 v10, v[12:13] offset:4 glc
	s_waitcnt vmcnt(0) lgkmcnt(0)
	v_ashrrev_i32_e32 v11, 31, v10
.LBB4_423:                              ;   in Loop: Header=BB4_107 Depth=1
	s_or_b32 exec_lo, exec_lo, s30
	s_delay_alu instid0(SALU_CYCLE_1)
	s_or_not1_b32 s16, vcc_lo, exec_lo
.LBB4_424:                              ;   in Loop: Header=BB4_107 Depth=1
	s_or_b32 exec_lo, exec_lo, vcc_hi
	s_and_saveexec_b32 vcc_lo, s16
; %bb.425:                              ;   in Loop: Header=BB4_107 Depth=1
	v_mad_i64_i32 v[10:11], null, v1, v51, 0
; %bb.426:                              ;   in Loop: Header=BB4_107 Depth=1
	s_or_b32 exec_lo, exec_lo, vcc_lo
	s_delay_alu instid0(VALU_DEP_1) | instskip(SKIP_1) | instid1(VALU_DEP_3)
	v_add_co_u32 v10, vcc_lo, v22, v10
	v_and_b32_e32 v1, 0x2000, v50
	v_add_co_ci_u32_e32 v11, vcc_lo, v23, v11, vcc_lo
	s_mov_b32 s16, exec_lo
	ds_store_b64 v0, v[10:11] offset:720
	v_cmpx_ne_u32_e32 0, v1
	s_cbranch_execz .LBB4_428
; %bb.427:                              ;   in Loop: Header=BB4_107 Depth=1
	ds_load_b64 v[10:11], v0 offset:584
	s_waitcnt lgkmcnt(0)
	v_add_co_u32 v10, vcc_lo, v10, 1
	v_add_co_ci_u32_e32 v11, vcc_lo, 0, v11, vcc_lo
	ds_store_b64 v0, v[10:11] offset:584
.LBB4_428:                              ;   in Loop: Header=BB4_107 Depth=1
	s_or_b32 exec_lo, exec_lo, s16
	v_add_co_u32 v8, vcc_lo, v8, 1
	v_add_co_ci_u32_e32 v9, vcc_lo, 0, v9, vcc_lo
.LBB4_429:                              ;   in Loop: Header=BB4_107 Depth=1
	s_or_b32 exec_lo, exec_lo, s17
	s_and_saveexec_b32 s16, s3
	s_cbranch_execz .LBB4_451
; %bb.430:                              ;   in Loop: Header=BB4_107 Depth=1
	s_and_saveexec_b32 s17, s4
	s_delay_alu instid0(SALU_CYCLE_1)
	s_xor_b32 s17, exec_lo, s17
	s_cbranch_execz .LBB4_448
; %bb.431:                              ;   in Loop: Header=BB4_107 Depth=1
	s_and_saveexec_b32 vcc_hi, s5
	s_cbranch_execz .LBB4_447
; %bb.432:                              ;   in Loop: Header=BB4_107 Depth=1
	s_mov_b32 s31, exec_lo
	s_mov_b32 s30, exec_lo
	v_mbcnt_lo_u32_b32 v1, s31, 0
	s_waitcnt lgkmcnt(0)
	s_waitcnt_vscnt null, 0x0
	buffer_gl1_inv
	buffer_gl0_inv
	v_cmpx_eq_u32_e32 0, v1
	s_cbranch_execz .LBB4_434
; %bb.433:                              ;   in Loop: Header=BB4_107 Depth=1
	s_bcnt1_i32_b32 vcc_lo, s31
	s_delay_alu instid0(SALU_CYCLE_1)
	v_mov_b32_e32 v1, vcc_lo
	ds_add_u64 v0, v[1:2]
	s_cbranch_execnz .LBB4_1310
.LBB4_434:                              ;   in Loop: Header=BB4_107 Depth=1
	s_or_b32 exec_lo, exec_lo, s30
	s_cbranch_execnz .LBB4_1288
; %bb.435:                              ;   in Loop: Header=BB4_107 Depth=1
	ds_load_b64 v[10:11], v0
	v_add_co_u32 v26, vcc_lo, v26, v54
	v_add_co_ci_u32_e32 v27, vcc_lo, 0, v27, vcc_lo
	s_mov_b32 s30, exec_lo
	s_waitcnt lgkmcnt(0)
	s_delay_alu instid0(VALU_DEP_1)
	v_cmpx_lt_u64_e64 v[10:11], v[26:27]
	s_cbranch_execz .LBB4_446
; %bb.436:                              ;   in Loop: Header=BB4_107 Depth=1
	s_mov_b32 s31, 0
	s_mov_b32 s36, 0
                                        ; implicit-def: $sgpr34
                                        ; implicit-def: $sgpr35
	s_branch .LBB4_438
.LBB4_437:                              ;   in Loop: Header=BB4_438 Depth=2
	s_or_b32 exec_lo, exec_lo, s38
	s_delay_alu instid0(SALU_CYCLE_1) | instskip(NEXT) | instid1(SALU_CYCLE_1)
	s_and_b32 vcc_lo, exec_lo, vcc_lo
	s_or_b32 s31, vcc_lo, s31
	s_and_not1_b32 vcc_lo, s34, exec_lo
	s_and_b32 s34, s35, exec_lo
	s_delay_alu instid0(SALU_CYCLE_1)
	s_or_b32 s34, vcc_lo, s34
	s_and_not1_b32 exec_lo, exec_lo, s31
	s_cbranch_execz .LBB4_444
.LBB4_438:                              ;   Parent Loop BB4_107 Depth=1
                                        ; =>  This Inner Loop Header: Depth=2
	s_add_i32 s36, s36, 1
                                        ; implicit-def: $sgpr38
	s_delay_alu instid0(SALU_CYCLE_1) | instskip(SKIP_1) | instid1(SALU_CYCLE_1)
	s_cmpk_lg_i32 s36, 0x2710
	s_cselect_b32 s37, -1, 0
	s_and_b32 vcc_lo, exec_lo, s37
	s_cbranch_vccz .LBB4_442
.LBB4_439:                              ;   in Loop: Header=BB4_438 Depth=2
	s_and_not1_b32 s35, s35, exec_lo
	s_and_b32 s38, s38, exec_lo
	s_mov_b32 vcc_lo, -1
	s_or_b32 s35, s35, s38
	s_and_saveexec_b32 s38, s37
	s_cbranch_execz .LBB4_437
; %bb.440:                              ;   in Loop: Header=BB4_438 Depth=2
	s_sleep 1
	s_cbranch_execnz .LBB4_1360
; %bb.441:                              ;   in Loop: Header=BB4_438 Depth=2
	ds_load_b64 v[10:11], v0
	s_and_not1_b32 s35, s35, exec_lo
	s_waitcnt lgkmcnt(0)
	v_cmp_ge_u64_e32 vcc_lo, v[10:11], v[26:27]
	s_or_not1_b32 vcc_lo, vcc_lo, exec_lo
	s_branch .LBB4_437
.LBB4_442:                              ;   in Loop: Header=BB4_438 Depth=2
	s_cbranch_execnz .LBB4_1370
; %bb.443:                              ;   in Loop: Header=BB4_438 Depth=2
	ds_load_b64 v[10:11], v0
	s_and_not1_b32 s37, s37, exec_lo
	s_mov_b32 s36, 0
	s_mov_b32 s38, -1
	s_waitcnt lgkmcnt(0)
	flat_load_b32 v1, v[10:11] glc
	s_waitcnt vmcnt(0) lgkmcnt(0)
	buffer_gl1_inv
	buffer_gl0_inv
	v_cmp_eq_u32_e32 vcc_lo, 0, v1
	s_and_b32 vcc_lo, vcc_lo, exec_lo
	s_delay_alu instid0(SALU_CYCLE_1)
	s_or_b32 s37, s37, vcc_lo
	s_branch .LBB4_439
.LBB4_444:                              ;   in Loop: Header=BB4_107 Depth=1
	s_or_b32 exec_lo, exec_lo, s31
	s_and_saveexec_b32 vcc_lo, s34
	s_delay_alu instid0(SALU_CYCLE_1)
	s_xor_b32 vcc_lo, exec_lo, vcc_lo
	s_cbranch_execz .LBB4_446
; %bb.445:                              ;   in Loop: Header=BB4_107 Depth=1
	ds_store_b32 v0, v98
	s_cbranch_execnz .LBB4_1551
.LBB4_446:                              ;   in Loop: Header=BB4_107 Depth=1
	s_or_b32 exec_lo, exec_lo, s30
	;;#ASMSTART
	s_wakeup
	;;#ASMEND
.LBB4_447:                              ;   in Loop: Header=BB4_107 Depth=1
	s_or_b32 exec_lo, exec_lo, vcc_hi
.LBB4_448:                              ;   in Loop: Header=BB4_107 Depth=1
	s_and_not1_saveexec_b32 s17, s17
	s_cbranch_execz .LBB4_450
; %bb.449:                              ;   in Loop: Header=BB4_107 Depth=1
	s_waitcnt lgkmcnt(0)
	s_waitcnt_vscnt null, 0x0
	buffer_gl1_inv
	buffer_gl0_inv
	s_barrier
.LBB4_450:                              ;   in Loop: Header=BB4_107 Depth=1
	s_or_b32 exec_lo, exec_lo, s17
.LBB4_451:                              ;   in Loop: Header=BB4_107 Depth=1
	s_delay_alu instid0(SALU_CYCLE_1)
	s_or_b32 exec_lo, exec_lo, s16
	s_cbranch_execnz .LBB4_1179
; %bb.452:                              ;   in Loop: Header=BB4_107 Depth=1
	ds_load_b32 v10, v0
	v_and_b32_e32 v1, 0x4000, v50
	s_delay_alu instid0(VALU_DEP_1) | instskip(SKIP_1) | instid1(SALU_CYCLE_1)
	v_cmp_ne_u32_e32 vcc_lo, 0, v1
	s_and_b32 s17, s27, vcc_lo
	s_and_saveexec_b32 s16, s17
	s_cbranch_execz .LBB4_474
; %bb.453:                              ;   in Loop: Header=BB4_107 Depth=1
	s_and_saveexec_b32 s17, s4
	s_delay_alu instid0(SALU_CYCLE_1)
	s_xor_b32 s17, exec_lo, s17
	s_cbranch_execz .LBB4_471
; %bb.454:                              ;   in Loop: Header=BB4_107 Depth=1
	s_and_saveexec_b32 vcc_hi, s5
	s_cbranch_execz .LBB4_470
; %bb.455:                              ;   in Loop: Header=BB4_107 Depth=1
	s_mov_b32 s31, exec_lo
	s_mov_b32 s30, exec_lo
	v_mbcnt_lo_u32_b32 v1, s31, 0
	s_waitcnt lgkmcnt(0)
	s_waitcnt_vscnt null, 0x0
	buffer_gl1_inv
	buffer_gl0_inv
	v_cmpx_eq_u32_e32 0, v1
	s_cbranch_execz .LBB4_457
; %bb.456:                              ;   in Loop: Header=BB4_107 Depth=1
	s_bcnt1_i32_b32 vcc_lo, s31
	s_delay_alu instid0(SALU_CYCLE_1)
	v_mov_b32_e32 v1, vcc_lo
	ds_add_u64 v0, v[1:2]
	s_cbranch_execnz .LBB4_1354
.LBB4_457:                              ;   in Loop: Header=BB4_107 Depth=1
	s_or_b32 exec_lo, exec_lo, s30
	s_cbranch_execnz .LBB4_1336
; %bb.458:                              ;   in Loop: Header=BB4_107 Depth=1
	ds_load_b64 v[11:12], v0
	v_add_co_u32 v26, vcc_lo, v26, v54
	v_add_co_ci_u32_e32 v27, vcc_lo, 0, v27, vcc_lo
	s_mov_b32 s30, exec_lo
	s_waitcnt lgkmcnt(0)
	s_delay_alu instid0(VALU_DEP_1)
	v_cmpx_lt_u64_e64 v[11:12], v[26:27]
	s_cbranch_execz .LBB4_469
; %bb.459:                              ;   in Loop: Header=BB4_107 Depth=1
	s_mov_b32 s31, 0
	s_mov_b32 s36, 0
                                        ; implicit-def: $sgpr34
                                        ; implicit-def: $sgpr35
	s_branch .LBB4_461
.LBB4_460:                              ;   in Loop: Header=BB4_461 Depth=2
	s_or_b32 exec_lo, exec_lo, s38
	s_delay_alu instid0(SALU_CYCLE_1) | instskip(NEXT) | instid1(SALU_CYCLE_1)
	s_and_b32 vcc_lo, exec_lo, vcc_lo
	s_or_b32 s31, vcc_lo, s31
	s_and_not1_b32 vcc_lo, s34, exec_lo
	s_and_b32 s34, s35, exec_lo
	s_delay_alu instid0(SALU_CYCLE_1)
	s_or_b32 s34, vcc_lo, s34
	s_and_not1_b32 exec_lo, exec_lo, s31
	s_cbranch_execz .LBB4_467
.LBB4_461:                              ;   Parent Loop BB4_107 Depth=1
                                        ; =>  This Inner Loop Header: Depth=2
	s_add_i32 s36, s36, 1
                                        ; implicit-def: $sgpr38
	s_delay_alu instid0(SALU_CYCLE_1) | instskip(SKIP_1) | instid1(SALU_CYCLE_1)
	s_cmpk_lg_i32 s36, 0x2710
	s_cselect_b32 s37, -1, 0
	s_and_b32 vcc_lo, exec_lo, s37
	s_cbranch_vccz .LBB4_465
.LBB4_462:                              ;   in Loop: Header=BB4_461 Depth=2
	s_and_not1_b32 s35, s35, exec_lo
	s_and_b32 s38, s38, exec_lo
	s_mov_b32 vcc_lo, -1
	s_or_b32 s35, s35, s38
	s_and_saveexec_b32 s38, s37
	s_cbranch_execz .LBB4_460
; %bb.463:                              ;   in Loop: Header=BB4_461 Depth=2
	s_sleep 1
	s_cbranch_execnz .LBB4_1422
; %bb.464:                              ;   in Loop: Header=BB4_461 Depth=2
	ds_load_b64 v[11:12], v0
	s_and_not1_b32 s35, s35, exec_lo
	s_waitcnt lgkmcnt(0)
	v_cmp_ge_u64_e32 vcc_lo, v[11:12], v[26:27]
	s_or_not1_b32 vcc_lo, vcc_lo, exec_lo
	s_branch .LBB4_460
.LBB4_465:                              ;   in Loop: Header=BB4_461 Depth=2
	s_cbranch_execnz .LBB4_1459
; %bb.466:                              ;   in Loop: Header=BB4_461 Depth=2
	ds_load_b64 v[11:12], v0
	s_and_not1_b32 s37, s37, exec_lo
	s_mov_b32 s36, 0
	s_mov_b32 s38, -1
	s_waitcnt lgkmcnt(0)
	flat_load_b32 v1, v[11:12] glc
	s_waitcnt vmcnt(0) lgkmcnt(0)
	buffer_gl1_inv
	buffer_gl0_inv
	v_cmp_eq_u32_e32 vcc_lo, 0, v1
	s_and_b32 vcc_lo, vcc_lo, exec_lo
	s_delay_alu instid0(SALU_CYCLE_1)
	s_or_b32 s37, s37, vcc_lo
	s_branch .LBB4_462
.LBB4_467:                              ;   in Loop: Header=BB4_107 Depth=1
	s_or_b32 exec_lo, exec_lo, s31
	s_and_saveexec_b32 vcc_lo, s34
	s_delay_alu instid0(SALU_CYCLE_1)
	s_xor_b32 vcc_lo, exec_lo, vcc_lo
	s_cbranch_execz .LBB4_469
; %bb.468:                              ;   in Loop: Header=BB4_107 Depth=1
	ds_store_b32 v0, v98
	s_cbranch_execnz .LBB4_1575
.LBB4_469:                              ;   in Loop: Header=BB4_107 Depth=1
	s_or_b32 exec_lo, exec_lo, s30
	;;#ASMSTART
	s_wakeup
	;;#ASMEND
.LBB4_470:                              ;   in Loop: Header=BB4_107 Depth=1
	s_or_b32 exec_lo, exec_lo, vcc_hi
.LBB4_471:                              ;   in Loop: Header=BB4_107 Depth=1
	s_and_not1_saveexec_b32 s17, s17
	s_cbranch_execz .LBB4_473
; %bb.472:                              ;   in Loop: Header=BB4_107 Depth=1
	s_waitcnt lgkmcnt(0)
	s_waitcnt_vscnt null, 0x0
	buffer_gl1_inv
	buffer_gl0_inv
	s_barrier
.LBB4_473:                              ;   in Loop: Header=BB4_107 Depth=1
	s_or_b32 exec_lo, exec_lo, s17
.LBB4_474:                              ;   in Loop: Header=BB4_107 Depth=1
	s_delay_alu instid0(SALU_CYCLE_1)
	s_or_b32 exec_lo, exec_lo, s16
	s_cbranch_execnz .LBB4_1241
; %bb.475:                              ;   in Loop: Header=BB4_107 Depth=1
	ds_load_b64 v[11:12], v0
	v_min_i32_e32 v38, v38, v99
	s_waitcnt lgkmcnt(0)
	v_cmp_eq_u64_e32 vcc_lo, 0, v[11:12]
	s_or_b32 s16, vcc_lo, vcc_lo
	s_delay_alu instid0(SALU_CYCLE_1)
	s_and_b32 vcc_lo, exec_lo, s16
	s_mov_b32 s16, 0
	s_cbranch_vccnz .LBB4_508
; %bb.476:                              ;   in Loop: Header=BB4_107 Depth=1
	s_mov_b32 s16, -1
	s_and_saveexec_b32 s17, s6
	s_cbranch_execz .LBB4_478
; %bb.477:                              ;   in Loop: Header=BB4_107 Depth=1
	ds_load_b32 v1, v0 offset:720
	s_waitcnt lgkmcnt(0)
	v_and_b32_e32 v1, 15, v1
	s_delay_alu instid0(VALU_DEP_1)
	v_cmp_eq_u32_e32 vcc_lo, 0, v1
	s_or_not1_b32 s16, vcc_lo, exec_lo
.LBB4_478:                              ;   in Loop: Header=BB4_107 Depth=1
	s_or_b32 exec_lo, exec_lo, s17
	s_and_saveexec_b32 s17, s10
	s_cbranch_execz .LBB4_480
; %bb.479:                              ;   in Loop: Header=BB4_107 Depth=1
	ds_load_b32 v1, v0 offset:784
	s_waitcnt lgkmcnt(0)
	v_and_b32_e32 v1, 15, v1
	s_delay_alu instid0(VALU_DEP_1) | instskip(SKIP_3) | instid1(SALU_CYCLE_1)
	v_cmp_eq_u32_e32 vcc_lo, 0, v1
	s_and_b32 vcc_lo, s16, vcc_lo
	s_and_not1_b32 s16, s16, exec_lo
	s_and_b32 vcc_lo, vcc_lo, exec_lo
	s_or_b32 s16, s16, vcc_lo
.LBB4_480:                              ;   in Loop: Header=BB4_107 Depth=1
	s_or_b32 exec_lo, exec_lo, s17
	v_cmp_eq_u32_e32 vcc_lo, 0, v10
	s_xor_b32 s16, s16, -1
	v_mov_b32_e32 v49, v0
	v_cndmask_b32_e64 v11, 0, 1, s16
	;;#ASMSTART
	;;#ASMEND
	v_dual_cndmask_b32 v1, 0, v38 :: v_dual_mov_b32 v48, 0
	s_delay_alu instid0(VALU_DEP_2) | instskip(SKIP_1) | instid1(VALU_DEP_2)
	v_cmp_ne_u32_e32 vcc_lo, 0, v11
	s_mov_b32 s16, -1
	v_dual_mov_b32 v102, v68 :: v_dual_mov_b32 v39, v1
	s_cbranch_vccnz .LBB4_496
; %bb.481:                              ;   in Loop: Header=BB4_107 Depth=1
	v_ashrrev_i32_e32 v10, 31, v1
	s_mov_b32 s17, exec_lo
	s_delay_alu instid0(VALU_DEP_1) | instskip(NEXT) | instid1(VALU_DEP_1)
	v_lshrrev_b32_e32 v10, 22, v10
	v_add_nc_u32_e32 v10, v1, v10
	s_delay_alu instid0(VALU_DEP_1) | instskip(NEXT) | instid1(VALU_DEP_1)
	v_ashrrev_i32_e32 v39, 10, v10
	v_sub_nc_u32_e32 v100, v39, v68
	s_delay_alu instid0(VALU_DEP_1)
	v_cmpx_lt_i32_e32 0, v100
	s_cbranch_execz .LBB4_486
; %bb.482:                              ;   in Loop: Header=BB4_107 Depth=1
	s_cbranch_execnz .LBB4_1376
; %bb.483:                              ;   in Loop: Header=BB4_107 Depth=1
	ds_load_b64 v[10:11], v0
	v_dual_mov_b32 v12, v34 :: v_dual_mov_b32 v13, v35
	s_mov_b32 vcc_hi, 0
.LBB4_484:                              ;   Parent Loop BB4_107 Depth=1
                                        ; =>  This Inner Loop Header: Depth=2
	s_waitcnt lgkmcnt(0)
	s_delay_alu instid0(VALU_DEP_1) | instskip(NEXT) | instid1(VALU_DEP_2)
	v_add_co_u32 v48, vcc_lo, v10, v12
	v_add_co_ci_u32_e32 v49, vcc_lo, v11, v13, vcc_lo
	v_sub_nc_u32_e32 v100, v100, v54
	v_add_co_u32 v12, s16, v12, v96
	s_clause 0x1
	global_load_b128 v[112:115], v[48:49], off slc dlc
	global_load_b128 v[116:119], v[48:49], off offset:512 slc dlc
	v_add_co_ci_u32_e64 v13, s16, v13, v97, s16
	v_cmp_gt_i32_e32 vcc_lo, 1, v100
	s_waitcnt vmcnt(1)
	global_store_b128 v[48:49], v[112:115], off glc slc dlc
	s_waitcnt vmcnt(0)
	global_store_b128 v[48:49], v[116:119], off offset:512 glc slc dlc
	s_or_b32 vcc_hi, vcc_lo, vcc_hi
	s_delay_alu instid0(SALU_CYCLE_1)
	s_and_not1_b32 exec_lo, exec_lo, vcc_hi
	s_cbranch_execnz .LBB4_484
; %bb.485:                              ;   in Loop: Header=BB4_107 Depth=1
	s_or_b32 exec_lo, exec_lo, vcc_hi
.LBB4_486:                              ;   in Loop: Header=BB4_107 Depth=1
	s_delay_alu instid0(SALU_CYCLE_1) | instskip(SKIP_4) | instid1(VALU_DEP_2)
	s_or_b32 exec_lo, exec_lo, s17
	v_lshlrev_b32_e32 v12, 10, v39
	v_mov_b32_e32 v48, 0
	s_mov_b32 s16, 0
	s_mov_b32 vcc_hi, exec_lo
                                        ; implicit-def: $vgpr39
                                        ; implicit-def: $vgpr49
                                        ; implicit-def: $vgpr102
	v_cmpx_ne_u32_e64 v1, v12
	s_cbranch_execz .LBB4_495
; %bb.487:                              ;   in Loop: Header=BB4_107 Depth=1
	v_lshlrev_b32_e32 v10, 5, v100
	v_sub_nc_u32_e32 v39, v1, v12
	s_mov_b32 s30, exec_lo
	s_delay_alu instid0(VALU_DEP_2) | instskip(NEXT) | instid1(VALU_DEP_2)
	v_sub_nc_u32_e32 v10, v69, v10
	v_ashrrev_i32_e32 v13, 31, v39
	s_delay_alu instid0(VALU_DEP_2) | instskip(NEXT) | instid1(VALU_DEP_2)
	v_ashrrev_i32_e32 v11, 31, v10
	v_lshrrev_b32_e32 v13, 23, v13
	s_delay_alu instid0(VALU_DEP_2) | instskip(NEXT) | instid1(VALU_DEP_2)
	v_lshrrev_b32_e32 v11, 27, v11
	v_add_nc_u32_e32 v49, v39, v13
	s_delay_alu instid0(VALU_DEP_2) | instskip(NEXT) | instid1(VALU_DEP_2)
	v_add_nc_u32_e32 v11, v10, v11
	v_and_b32_e32 v13, 0xfffffe00, v49
	v_ashrrev_i32_e32 v49, 9, v49
	s_delay_alu instid0(VALU_DEP_3) | instskip(NEXT) | instid1(VALU_DEP_3)
	v_and_b32_e32 v48, 0xffffffe0, v11
	v_sub_nc_u32_e32 v101, v39, v13
	s_delay_alu instid0(VALU_DEP_2) | instskip(SKIP_1) | instid1(VALU_DEP_3)
	v_sub_nc_u32_e32 v100, v10, v48
	v_ashrrev_i32_e32 v10, 5, v11
	v_cmp_lt_i32_e32 vcc_lo, 15, v101
	s_delay_alu instid0(VALU_DEP_3) | instskip(NEXT) | instid1(VALU_DEP_1)
	v_lshlrev_b32_e32 v11, 4, v100
	v_lshl_add_u32 v48, v10, 9, v11
	v_add_co_ci_u32_e64 v11, s16, 0, v49, vcc_lo
	s_delay_alu instid0(VALU_DEP_2) | instskip(NEXT) | instid1(VALU_DEP_2)
	v_sub_nc_u32_e32 v39, v39, v48
	v_sub_nc_u32_e32 v103, v11, v10
	s_delay_alu instid0(VALU_DEP_2)
	v_cmpx_lt_i32_e32 15, v39
	s_cbranch_execz .LBB4_492
; %bb.488:                              ;   in Loop: Header=BB4_107 Depth=1
	s_cbranch_execnz .LBB4_1477
; %bb.489:                              ;   in Loop: Header=BB4_107 Depth=1
	ds_load_b64 v[10:11], v0
	v_add_nc_u32_e32 v48, v48, v12
	s_mov_b32 s31, 0
	s_delay_alu instid0(VALU_DEP_1)
	v_ashrrev_i32_e32 v49, 31, v48
.LBB4_490:                              ;   Parent Loop BB4_107 Depth=1
                                        ; =>  This Inner Loop Header: Depth=2
	s_waitcnt lgkmcnt(0)
	v_add_co_u32 v116, s16, v10, v48
	s_delay_alu instid0(VALU_DEP_1)
	v_add_co_ci_u32_e64 v117, s16, v11, v49, s16
	v_sub_nc_u32_e32 v39, v39, v65
	v_add_co_u32 v48, s17, v48, v80
	global_load_b128 v[112:115], v[116:117], off slc dlc
	v_sub_nc_u32_e32 v103, v103, v54
	v_cmp_gt_i32_e64 s16, 16, v39
	v_add_co_ci_u32_e64 v49, s17, v49, v81, s17
	s_delay_alu instid0(VALU_DEP_2)
	s_or_b32 s31, s16, s31
	s_waitcnt vmcnt(0)
	global_store_b128 v[116:117], v[112:115], off glc slc dlc
	s_and_not1_b32 exec_lo, exec_lo, s31
	s_cbranch_execnz .LBB4_490
; %bb.491:                              ;   in Loop: Header=BB4_107 Depth=1
	s_or_b32 exec_lo, exec_lo, s31
.LBB4_492:                              ;   in Loop: Header=BB4_107 Depth=1
	s_delay_alu instid0(SALU_CYCLE_1) | instskip(SKIP_3) | instid1(VALU_DEP_1)
	s_or_b32 exec_lo, exec_lo, s30
	v_and_b32_e32 v10, 15, v1
	s_mov_b32 s17, 0
	s_mov_b32 s30, exec_lo
                                        ; implicit-def: $vgpr49
                                        ; implicit-def: $vgpr102
	v_dual_mov_b32 v48, 0 :: v_dual_cndmask_b32 v39, v101, v10
	s_delay_alu instid0(VALU_DEP_1)
	v_cmpx_ne_u32_e32 0, v39
; %bb.493:                              ;   in Loop: Header=BB4_107 Depth=1
	v_cmp_lt_i32_e64 s16, 0, v103
	v_sub_nc_u32_e32 v10, v101, v10
	s_mov_b32 s17, exec_lo
	s_delay_alu instid0(VALU_DEP_2) | instskip(NEXT) | instid1(VALU_DEP_1)
	v_cndmask_b32_e64 v11, 0, v54, s16
	v_sub_nc_u32_e32 v11, v11, v103
	s_delay_alu instid0(VALU_DEP_1) | instskip(NEXT) | instid1(VALU_DEP_1)
	v_lshl_add_u32 v49, v11, 5, v100
	v_ashrrev_i32_e32 v11, 31, v49
	s_delay_alu instid0(VALU_DEP_1) | instskip(NEXT) | instid1(VALU_DEP_1)
	v_lshrrev_b32_e32 v11, 27, v11
	v_dual_cndmask_b32 v10, 0, v10 :: v_dual_add_nc_u32 v11, v49, v11
	s_delay_alu instid0(VALU_DEP_1) | instskip(NEXT) | instid1(VALU_DEP_2)
	v_add3_u32 v48, v13, v12, v10
	v_ashrrev_i32_e32 v102, 5, v11
; %bb.494:                              ;   in Loop: Header=BB4_107 Depth=1
	s_or_b32 exec_lo, exec_lo, s30
	s_delay_alu instid0(SALU_CYCLE_1)
	s_and_b32 s16, s17, exec_lo
.LBB4_495:                              ;   in Loop: Header=BB4_107 Depth=1
	s_or_b32 exec_lo, exec_lo, vcc_hi
.LBB4_496:                              ;   in Loop: Header=BB4_107 Depth=1
	s_and_saveexec_b32 s17, s16
	s_cbranch_execz .LBB4_507
; %bb.497:                              ;   in Loop: Header=BB4_107 Depth=1
	s_delay_alu instid0(VALU_DEP_1) | instskip(SKIP_1) | instid1(VALU_DEP_1)
	v_ashrrev_i32_e32 v10, 31, v39
	s_mov_b32 s16, exec_lo
	v_lshrrev_b32_e32 v10, 24, v10
	s_delay_alu instid0(VALU_DEP_1) | instskip(NEXT) | instid1(VALU_DEP_1)
	v_add_nc_u32_e32 v10, v39, v10
	v_ashrrev_i32_e32 v101, 8, v10
	s_delay_alu instid0(VALU_DEP_1) | instskip(NEXT) | instid1(VALU_DEP_1)
	v_sub_nc_u32_e32 v100, v101, v102
	v_cmpx_lt_i32_e32 0, v100
	s_cbranch_execz .LBB4_502
; %bb.498:                              ;   in Loop: Header=BB4_107 Depth=1
	s_cbranch_execnz .LBB4_1362
; %bb.499:                              ;   in Loop: Header=BB4_107 Depth=1
	v_ashrrev_i32_e32 v10, 31, v49
	s_mov_b32 vcc_hi, 0
	s_delay_alu instid0(VALU_DEP_1) | instskip(NEXT) | instid1(VALU_DEP_1)
	v_lshrrev_b32_e32 v10, 27, v10
	v_add_nc_u32_e32 v12, v49, v10
	ds_load_b64 v[10:11], v0
	v_lshlrev_b32_e32 v13, 8, v102
	v_and_b32_e32 v12, 0xffffffe0, v12
	s_delay_alu instid0(VALU_DEP_1) | instskip(NEXT) | instid1(VALU_DEP_1)
	v_sub_nc_u32_e32 v12, v49, v12
	v_add3_u32 v102, v48, v12, v13
	s_delay_alu instid0(VALU_DEP_1)
	v_ashrrev_i32_e32 v103, 31, v102
	s_waitcnt lgkmcnt(0)
	v_dual_mov_b32 v13, v11 :: v_dual_mov_b32 v12, v10
.LBB4_500:                              ;   Parent Loop BB4_107 Depth=1
                                        ; =>  This Inner Loop Header: Depth=2
	s_delay_alu instid0(VALU_DEP_1) | instskip(NEXT) | instid1(VALU_DEP_2)
	v_add_co_u32 v112, vcc_lo, v102, v12
	v_add_co_ci_u32_e32 v113, vcc_lo, v103, v13, vcc_lo
	v_sub_nc_u32_e32 v100, v100, v54
	s_clause 0x7
	flat_load_u8 v114, v[112:113] slc dlc
	flat_load_u8 v115, v[112:113] offset:32 slc dlc
	flat_load_u8 v116, v[112:113] offset:64 slc dlc
	;; [unrolled: 1-line block ×7, first 2 shown]
	v_add_co_u32 v112, vcc_lo, v102, v10
	v_add_co_ci_u32_e32 v113, vcc_lo, v103, v11, vcc_lo
	v_add_co_u32 v12, vcc_lo, v12, v83
	v_add_co_ci_u32_e32 v13, vcc_lo, v13, v84, vcc_lo
	;; [unrolled: 2-line block ×3, first 2 shown]
	v_cmp_gt_i32_e32 vcc_lo, 1, v100
	s_waitcnt vmcnt(7) lgkmcnt(7)
	flat_store_b8 v[112:113], v114 glc slc dlc
	s_waitcnt vmcnt(6) lgkmcnt(7)
	flat_store_b8 v[112:113], v115 offset:32 glc slc dlc
	s_waitcnt vmcnt(5) lgkmcnt(7)
	flat_store_b8 v[112:113], v116 offset:64 glc slc dlc
	;; [unrolled: 2-line block ×7, first 2 shown]
	s_or_b32 vcc_hi, vcc_lo, vcc_hi
	s_delay_alu instid0(SALU_CYCLE_1)
	s_and_not1_b32 exec_lo, exec_lo, vcc_hi
	s_cbranch_execnz .LBB4_500
; %bb.501:                              ;   in Loop: Header=BB4_107 Depth=1
	s_or_b32 exec_lo, exec_lo, vcc_hi
.LBB4_502:                              ;   in Loop: Header=BB4_107 Depth=1
	s_delay_alu instid0(SALU_CYCLE_1) | instskip(SKIP_1) | instid1(VALU_DEP_1)
	s_or_b32 exec_lo, exec_lo, s16
	v_lshlrev_b32_e32 v10, 8, v101
	v_cmp_ne_u32_e32 vcc_lo, v39, v10
	s_and_b32 exec_lo, exec_lo, vcc_lo
	s_cbranch_execz .LBB4_507
; %bb.503:                              ;   in Loop: Header=BB4_107 Depth=1
	v_ashrrev_i32_e32 v11, 31, v49
	v_lshlrev_b32_e32 v12, 5, v100
	s_delay_alu instid0(VALU_DEP_2) | instskip(NEXT) | instid1(VALU_DEP_1)
	v_lshrrev_b32_e32 v11, 27, v11
	v_add_nc_u32_e32 v11, v49, v11
	s_delay_alu instid0(VALU_DEP_1) | instskip(NEXT) | instid1(VALU_DEP_1)
	v_and_b32_e32 v11, 0xffffffe0, v11
	v_sub_nc_u32_e32 v11, v49, v11
	s_delay_alu instid0(VALU_DEP_1) | instskip(NEXT) | instid1(VALU_DEP_1)
	v_sub_nc_u32_e32 v11, v11, v12
	v_add_nc_u32_e32 v13, v10, v11
	s_delay_alu instid0(VALU_DEP_1) | instskip(NEXT) | instid1(VALU_DEP_1)
	v_sub_nc_u32_e32 v12, v39, v13
	v_cmp_lt_i32_e32 vcc_lo, 0, v12
	s_and_b32 exec_lo, exec_lo, vcc_lo
	s_cbranch_execz .LBB4_507
; %bb.504:                              ;   in Loop: Header=BB4_107 Depth=1
	s_cbranch_execnz .LBB4_1467
; %bb.505:                              ;   in Loop: Header=BB4_107 Depth=1
	ds_load_b64 v[10:11], v0
	v_add_nc_u32_e32 v13, v13, v48
	s_mov_b32 vcc_hi, 0
	s_delay_alu instid0(VALU_DEP_1)
	v_ashrrev_i32_e32 v39, 31, v13
.LBB4_506:                              ;   Parent Loop BB4_107 Depth=1
                                        ; =>  This Inner Loop Header: Depth=2
	s_waitcnt lgkmcnt(0)
	v_add_co_u32 v48, vcc_lo, v10, v13
	s_delay_alu instid0(VALU_DEP_2)
	v_add_co_ci_u32_e32 v49, vcc_lo, v11, v39, vcc_lo
	v_sub_nc_u32_e32 v12, v12, v64
	v_add_co_u32 v13, s16, v13, v86
	flat_load_u8 v100, v[48:49] slc dlc
	v_add_co_ci_u32_e64 v39, s16, v39, v87, s16
	v_cmp_gt_i32_e32 vcc_lo, 1, v12
	s_or_b32 vcc_hi, vcc_lo, vcc_hi
	s_waitcnt vmcnt(0) lgkmcnt(0)
	flat_store_b8 v[48:49], v100 glc slc dlc
	s_and_not1_b32 exec_lo, exec_lo, vcc_hi
	s_cbranch_execnz .LBB4_506
.LBB4_507:                              ;   in Loop: Header=BB4_107 Depth=1
	s_or_b32 exec_lo, exec_lo, s17
	v_cmp_lt_i32_e64 s16, 0, v1
.LBB4_508:                              ;   in Loop: Header=BB4_107 Depth=1
	s_and_saveexec_b32 s17, s3
	s_cbranch_execz .LBB4_530
; %bb.509:                              ;   in Loop: Header=BB4_107 Depth=1
	s_and_saveexec_b32 vcc_lo, s4
	s_delay_alu instid0(SALU_CYCLE_1)
	s_xor_b32 vcc_hi, exec_lo, vcc_lo
	s_cbranch_execz .LBB4_527
; %bb.510:                              ;   in Loop: Header=BB4_107 Depth=1
	s_and_saveexec_b32 s30, s5
	s_cbranch_execz .LBB4_526
; %bb.511:                              ;   in Loop: Header=BB4_107 Depth=1
	s_mov_b32 s34, exec_lo
	s_mov_b32 s31, exec_lo
	v_mbcnt_lo_u32_b32 v1, s34, 0
	s_waitcnt lgkmcnt(0)
	s_waitcnt_vscnt null, 0x0
	buffer_gl1_inv
	buffer_gl0_inv
	v_cmpx_eq_u32_e32 0, v1
	s_cbranch_execz .LBB4_513
; %bb.512:                              ;   in Loop: Header=BB4_107 Depth=1
	s_bcnt1_i32_b32 vcc_lo, s34
	s_delay_alu instid0(SALU_CYCLE_1)
	v_mov_b32_e32 v1, vcc_lo
	ds_add_u64 v0, v[1:2]
	s_cbranch_execnz .LBB4_1426
.LBB4_513:                              ;   in Loop: Header=BB4_107 Depth=1
	s_or_b32 exec_lo, exec_lo, s31
	s_cbranch_execnz .LBB4_1384
; %bb.514:                              ;   in Loop: Header=BB4_107 Depth=1
	ds_load_b64 v[10:11], v0
	v_add_co_u32 v26, vcc_lo, v26, v54
	v_add_co_ci_u32_e32 v27, vcc_lo, 0, v27, vcc_lo
	s_mov_b32 s31, exec_lo
	s_waitcnt lgkmcnt(0)
	s_delay_alu instid0(VALU_DEP_1)
	v_cmpx_lt_u64_e64 v[10:11], v[26:27]
	s_cbranch_execz .LBB4_525
; %bb.515:                              ;   in Loop: Header=BB4_107 Depth=1
	s_mov_b32 s34, 0
	s_mov_b32 s37, 0
                                        ; implicit-def: $sgpr35
                                        ; implicit-def: $sgpr36
	s_branch .LBB4_517
.LBB4_516:                              ;   in Loop: Header=BB4_517 Depth=2
	s_or_b32 exec_lo, exec_lo, s39
	s_delay_alu instid0(SALU_CYCLE_1) | instskip(NEXT) | instid1(SALU_CYCLE_1)
	s_and_b32 vcc_lo, exec_lo, vcc_lo
	s_or_b32 s34, vcc_lo, s34
	s_and_not1_b32 vcc_lo, s35, exec_lo
	s_and_b32 s35, s36, exec_lo
	s_delay_alu instid0(SALU_CYCLE_1)
	s_or_b32 s35, vcc_lo, s35
	s_and_not1_b32 exec_lo, exec_lo, s34
	s_cbranch_execz .LBB4_523
.LBB4_517:                              ;   Parent Loop BB4_107 Depth=1
                                        ; =>  This Inner Loop Header: Depth=2
	s_add_i32 s37, s37, 1
                                        ; implicit-def: $sgpr39
	s_delay_alu instid0(SALU_CYCLE_1) | instskip(SKIP_1) | instid1(SALU_CYCLE_1)
	s_cmpk_lg_i32 s37, 0x2710
	s_cselect_b32 s38, -1, 0
	s_and_b32 vcc_lo, exec_lo, s38
	s_cbranch_vccz .LBB4_521
.LBB4_518:                              ;   in Loop: Header=BB4_517 Depth=2
	s_and_not1_b32 s36, s36, exec_lo
	s_and_b32 s39, s39, exec_lo
	s_mov_b32 vcc_lo, -1
	s_or_b32 s36, s36, s39
	s_and_saveexec_b32 s39, s38
	s_cbranch_execz .LBB4_516
; %bb.519:                              ;   in Loop: Header=BB4_517 Depth=2
	s_sleep 1
	s_cbranch_execnz .LBB4_1495
; %bb.520:                              ;   in Loop: Header=BB4_517 Depth=2
	ds_load_b64 v[10:11], v0
	s_and_not1_b32 s36, s36, exec_lo
	s_waitcnt lgkmcnt(0)
	v_cmp_ge_u64_e32 vcc_lo, v[10:11], v[26:27]
	s_or_not1_b32 vcc_lo, vcc_lo, exec_lo
	s_branch .LBB4_516
.LBB4_521:                              ;   in Loop: Header=BB4_517 Depth=2
	s_cbranch_execnz .LBB4_1505
; %bb.522:                              ;   in Loop: Header=BB4_517 Depth=2
	ds_load_b64 v[10:11], v0
	s_and_not1_b32 s38, s38, exec_lo
	s_mov_b32 s37, 0
	s_mov_b32 s39, -1
	s_waitcnt lgkmcnt(0)
	flat_load_b32 v1, v[10:11] glc
	s_waitcnt vmcnt(0) lgkmcnt(0)
	buffer_gl1_inv
	buffer_gl0_inv
	v_cmp_eq_u32_e32 vcc_lo, 0, v1
	s_and_b32 vcc_lo, vcc_lo, exec_lo
	s_delay_alu instid0(SALU_CYCLE_1)
	s_or_b32 s38, s38, vcc_lo
	s_branch .LBB4_518
.LBB4_523:                              ;   in Loop: Header=BB4_107 Depth=1
	s_or_b32 exec_lo, exec_lo, s34
	s_and_saveexec_b32 vcc_lo, s35
	s_delay_alu instid0(SALU_CYCLE_1)
	s_xor_b32 vcc_lo, exec_lo, vcc_lo
	s_cbranch_execz .LBB4_525
; %bb.524:                              ;   in Loop: Header=BB4_107 Depth=1
	ds_store_b32 v0, v98
	s_cbranch_execnz .LBB4_1579
.LBB4_525:                              ;   in Loop: Header=BB4_107 Depth=1
	s_or_b32 exec_lo, exec_lo, s31
	;;#ASMSTART
	s_wakeup
	;;#ASMEND
.LBB4_526:                              ;   in Loop: Header=BB4_107 Depth=1
	s_or_b32 exec_lo, exec_lo, s30
.LBB4_527:                              ;   in Loop: Header=BB4_107 Depth=1
	s_and_not1_saveexec_b32 vcc_lo, vcc_hi
	s_cbranch_execz .LBB4_529
; %bb.528:                              ;   in Loop: Header=BB4_107 Depth=1
	s_waitcnt lgkmcnt(0)
	s_waitcnt_vscnt null, 0x0
	buffer_gl1_inv
	buffer_gl0_inv
	s_barrier
.LBB4_529:                              ;   in Loop: Header=BB4_107 Depth=1
	s_or_b32 exec_lo, exec_lo, vcc_lo
.LBB4_530:                              ;   in Loop: Header=BB4_107 Depth=1
	s_delay_alu instid0(SALU_CYCLE_1) | instskip(SKIP_1) | instid1(SALU_CYCLE_1)
	s_or_b32 exec_lo, exec_lo, s17
	s_and_saveexec_b32 s17, s11
	s_xor_b32 s17, exec_lo, s17
	s_cbranch_execz .LBB4_534
; %bb.531:                              ;   in Loop: Header=BB4_107 Depth=1
	v_and_b32_e32 v1, 16, v50
	s_delay_alu instid0(VALU_DEP_1) | instskip(SKIP_1) | instid1(SALU_CYCLE_1)
	v_cmp_ne_u32_e32 vcc_lo, 0, v1
	s_and_b32 vcc_lo, vcc_lo, s16
	s_and_saveexec_b32 s16, vcc_lo
	s_cbranch_execz .LBB4_533
; %bb.532:                              ;   in Loop: Header=BB4_107 Depth=1
	s_waitcnt lgkmcnt(0)
	s_waitcnt_vscnt null, 0x0
	buffer_gl1_inv
	buffer_gl0_inv
.LBB4_533:                              ;   in Loop: Header=BB4_107 Depth=1
	s_or_b32 exec_lo, exec_lo, s16
.LBB4_534:                              ;   in Loop: Header=BB4_107 Depth=1
	s_and_not1_saveexec_b32 s16, s17
	s_cbranch_execz .LBB4_556
; %bb.535:                              ;   in Loop: Header=BB4_107 Depth=1
	s_and_saveexec_b32 s17, s4
	s_delay_alu instid0(SALU_CYCLE_1)
	s_xor_b32 s17, exec_lo, s17
	s_cbranch_execz .LBB4_553
; %bb.536:                              ;   in Loop: Header=BB4_107 Depth=1
	s_and_saveexec_b32 vcc_hi, s5
	s_cbranch_execz .LBB4_552
; %bb.537:                              ;   in Loop: Header=BB4_107 Depth=1
	s_mov_b32 s31, exec_lo
	s_mov_b32 s30, exec_lo
	v_mbcnt_lo_u32_b32 v1, s31, 0
	;;#ASMSTART
	s_waitcnt lgkmcnt(0) vmcnt(0)
	;;#ASMEND
	s_delay_alu instid0(VALU_DEP_1)
	v_cmpx_eq_u32_e32 0, v1
	s_cbranch_execz .LBB4_539
; %bb.538:                              ;   in Loop: Header=BB4_107 Depth=1
	s_bcnt1_i32_b32 vcc_lo, s31
	s_delay_alu instid0(SALU_CYCLE_1)
	v_mov_b32_e32 v1, vcc_lo
	ds_add_u64 v0, v[1:2]
	s_cbranch_execnz .LBB4_1447
.LBB4_539:                              ;   in Loop: Header=BB4_107 Depth=1
	s_or_b32 exec_lo, exec_lo, s30
	s_cbranch_execnz .LBB4_1392
; %bb.540:                              ;   in Loop: Header=BB4_107 Depth=1
	ds_load_b64 v[10:11], v0
	v_add_co_u32 v26, vcc_lo, v26, v54
	v_add_co_ci_u32_e32 v27, vcc_lo, 0, v27, vcc_lo
	s_mov_b32 s30, exec_lo
	s_waitcnt lgkmcnt(0)
	s_delay_alu instid0(VALU_DEP_1)
	v_cmpx_lt_u64_e64 v[10:11], v[26:27]
	s_cbranch_execz .LBB4_551
; %bb.541:                              ;   in Loop: Header=BB4_107 Depth=1
	s_mov_b32 s31, 0
	s_mov_b32 s36, 0
                                        ; implicit-def: $sgpr34
                                        ; implicit-def: $sgpr35
	s_branch .LBB4_543
.LBB4_542:                              ;   in Loop: Header=BB4_543 Depth=2
	s_or_b32 exec_lo, exec_lo, s38
	s_delay_alu instid0(SALU_CYCLE_1) | instskip(NEXT) | instid1(SALU_CYCLE_1)
	s_and_b32 vcc_lo, exec_lo, vcc_lo
	s_or_b32 s31, vcc_lo, s31
	s_and_not1_b32 vcc_lo, s34, exec_lo
	s_and_b32 s34, s35, exec_lo
	s_delay_alu instid0(SALU_CYCLE_1)
	s_or_b32 s34, vcc_lo, s34
	s_and_not1_b32 exec_lo, exec_lo, s31
	s_cbranch_execz .LBB4_549
.LBB4_543:                              ;   Parent Loop BB4_107 Depth=1
                                        ; =>  This Inner Loop Header: Depth=2
	s_add_i32 s36, s36, 1
                                        ; implicit-def: $sgpr38
	s_delay_alu instid0(SALU_CYCLE_1) | instskip(SKIP_1) | instid1(SALU_CYCLE_1)
	s_cmpk_lg_i32 s36, 0x2710
	s_cselect_b32 s37, -1, 0
	s_and_b32 vcc_lo, exec_lo, s37
	s_cbranch_vccz .LBB4_547
.LBB4_544:                              ;   in Loop: Header=BB4_543 Depth=2
	s_and_not1_b32 s35, s35, exec_lo
	s_and_b32 s38, s38, exec_lo
	s_mov_b32 vcc_lo, -1
	s_or_b32 s35, s35, s38
	s_and_saveexec_b32 s38, s37
	s_cbranch_execz .LBB4_542
; %bb.545:                              ;   in Loop: Header=BB4_543 Depth=2
	s_sleep 1
	s_cbranch_execnz .LBB4_1499
; %bb.546:                              ;   in Loop: Header=BB4_543 Depth=2
	ds_load_b64 v[10:11], v0
	s_and_not1_b32 s35, s35, exec_lo
	s_waitcnt lgkmcnt(0)
	v_cmp_ge_u64_e32 vcc_lo, v[10:11], v[26:27]
	s_or_not1_b32 vcc_lo, vcc_lo, exec_lo
	s_branch .LBB4_542
.LBB4_547:                              ;   in Loop: Header=BB4_543 Depth=2
	s_cbranch_execnz .LBB4_1513
; %bb.548:                              ;   in Loop: Header=BB4_543 Depth=2
	ds_load_b64 v[10:11], v0
	s_and_not1_b32 s37, s37, exec_lo
	s_mov_b32 s36, 0
	s_mov_b32 s38, -1
	s_waitcnt lgkmcnt(0)
	s_waitcnt_vscnt null, 0x0
	flat_load_b32 v1, v[10:11] glc
	s_waitcnt vmcnt(0) lgkmcnt(0)
	buffer_gl1_inv
	buffer_gl0_inv
	v_cmp_eq_u32_e32 vcc_lo, 0, v1
	s_and_b32 vcc_lo, vcc_lo, exec_lo
	s_delay_alu instid0(SALU_CYCLE_1)
	s_or_b32 s37, s37, vcc_lo
	s_branch .LBB4_544
.LBB4_549:                              ;   in Loop: Header=BB4_107 Depth=1
	s_or_b32 exec_lo, exec_lo, s31
	s_and_saveexec_b32 vcc_lo, s34
	s_delay_alu instid0(SALU_CYCLE_1)
	s_xor_b32 vcc_lo, exec_lo, vcc_lo
	s_cbranch_execz .LBB4_551
; %bb.550:                              ;   in Loop: Header=BB4_107 Depth=1
	ds_store_b32 v0, v98
	s_cbranch_execnz .LBB4_1581
.LBB4_551:                              ;   in Loop: Header=BB4_107 Depth=1
	s_or_b32 exec_lo, exec_lo, s30
	;;#ASMSTART
	s_wakeup
	;;#ASMEND
.LBB4_552:                              ;   in Loop: Header=BB4_107 Depth=1
	s_or_b32 exec_lo, exec_lo, vcc_hi
.LBB4_553:                              ;   in Loop: Header=BB4_107 Depth=1
	s_and_not1_saveexec_b32 s17, s17
	s_cbranch_execz .LBB4_555
; %bb.554:                              ;   in Loop: Header=BB4_107 Depth=1
	;;#ASMSTART
	s_waitcnt lgkmcnt(0) vmcnt(0)
	;;#ASMEND
	s_waitcnt lgkmcnt(0)
	s_waitcnt_vscnt null, 0x0
	s_barrier
.LBB4_555:                              ;   in Loop: Header=BB4_107 Depth=1
	s_or_b32 exec_lo, exec_lo, s17
.LBB4_556:                              ;   in Loop: Header=BB4_107 Depth=1
	s_delay_alu instid0(SALU_CYCLE_1) | instskip(SKIP_2) | instid1(VALU_DEP_1)
	s_or_b32 exec_lo, exec_lo, s16
	v_and_b32_e32 v1, 32, v50
	s_mov_b32 s16, exec_lo
	v_cmpx_ne_u32_e32 0, v1
	s_cbranch_execz .LBB4_558
; %bb.557:                              ;   in Loop: Header=BB4_107 Depth=1
	v_add_co_u32 v8, vcc_lo, v8, 1
	v_add_co_ci_u32_e32 v9, vcc_lo, 0, v9, vcc_lo
	s_waitcnt lgkmcnt(0)
	s_waitcnt_vscnt null, 0x0
	flat_store_b64 v[20:21], v[8:9]
.LBB4_558:                              ;   in Loop: Header=BB4_107 Depth=1
	s_or_b32 exec_lo, exec_lo, s16
	v_mov_b32_e32 v39, v38
.LBB4_559:                              ;   in Loop: Header=BB4_107 Depth=1
	s_or_b32 exec_lo, exec_lo, s28
	s_mov_b32 s16, s18
	s_and_saveexec_b32 s17, s14
	s_cbranch_execz .LBB4_634
; %bb.560:                              ;   in Loop: Header=BB4_107 Depth=1
	v_and_b32_e32 v1, 4, v50
	s_mov_b32 s28, -1
	s_mov_b32 s16, exec_lo
	s_delay_alu instid0(VALU_DEP_1)
	v_cmpx_ne_u32_e32 0, v1
	s_cbranch_execz .LBB4_574
; %bb.561:                              ;   in Loop: Header=BB4_107 Depth=1
	v_add_co_u32 v10, vcc_lo, v8, 1
	v_add_co_ci_u32_e32 v11, vcc_lo, 0, v9, vcc_lo
	v_mov_b32_e32 v1, 1
	s_mov_b32 s28, exec_lo
	s_delay_alu instid0(VALU_DEP_2)
	v_cmpx_lt_u64_e64 v[28:29], v[10:11]
	s_cbranch_execz .LBB4_573
; %bb.562:                              ;   in Loop: Header=BB4_107 Depth=1
	v_mov_b32_e32 v1, 0
	s_mov_b32 vcc_hi, 0
                                        ; implicit-def: $sgpr30
	s_branch .LBB4_566
.LBB4_563:                              ;   in Loop: Header=BB4_566 Depth=2
	s_or_b32 exec_lo, exec_lo, s36
	v_mov_b32_e32 v12, 0
	s_or_not1_b32 s35, s35, exec_lo
.LBB4_564:                              ;   in Loop: Header=BB4_566 Depth=2
	s_or_b32 exec_lo, exec_lo, s34
	s_delay_alu instid0(VALU_DEP_1) | instskip(SKIP_2) | instid1(SALU_CYCLE_1)
	v_mov_b32_e32 v1, v12
	s_and_not1_b32 vcc_lo, s30, exec_lo
	s_and_b32 s30, s35, exec_lo
	s_or_b32 s30, vcc_lo, s30
.LBB4_565:                              ;   in Loop: Header=BB4_566 Depth=2
	s_or_b32 exec_lo, exec_lo, s31
	s_waitcnt vmcnt(0) lgkmcnt(0)
	v_cmp_ge_u64_e32 vcc_lo, v[28:29], v[10:11]
	s_xor_b32 s31, s30, -1
	s_delay_alu instid0(SALU_CYCLE_1) | instskip(NEXT) | instid1(SALU_CYCLE_1)
	s_or_b32 vcc_lo, s31, vcc_lo
	s_and_b32 vcc_lo, exec_lo, vcc_lo
	s_delay_alu instid0(SALU_CYCLE_1) | instskip(NEXT) | instid1(SALU_CYCLE_1)
	s_or_b32 vcc_hi, vcc_lo, vcc_hi
	s_and_not1_b32 exec_lo, exec_lo, vcc_hi
	s_cbranch_execz .LBB4_572
.LBB4_566:                              ;   Parent Loop BB4_107 Depth=1
                                        ; =>  This Inner Loop Header: Depth=2
	s_sleep 1
	flat_load_b64 v[28:29], v[20:21] glc
	v_and_b32_e32 v12, 64, v50
	s_and_not1_b32 s30, s30, exec_lo
	s_mov_b32 s31, exec_lo
	s_delay_alu instid0(VALU_DEP_1)
	v_cmpx_eq_u32_e32 0, v12
	s_cbranch_execz .LBB4_565
; %bb.567:                              ;   in Loop: Header=BB4_566 Depth=2
	v_add_nc_u32_e32 v12, 1, v1
	s_mov_b32 s35, -1
	s_mov_b32 s34, exec_lo
	v_cmpx_lt_i32_e32 0x270e, v1
	s_cbranch_execz .LBB4_564
; %bb.568:                              ;   in Loop: Header=BB4_566 Depth=2
	s_cbranch_execnz .LBB4_1260
; %bb.569:                              ;   in Loop: Header=BB4_566 Depth=2
	ds_load_b64 v[12:13], v0
	s_mov_b32 s36, exec_lo
	s_waitcnt vmcnt(0) lgkmcnt(0)
	s_waitcnt_vscnt null, 0x0
	flat_load_b32 v1, v[12:13] glc
	s_waitcnt vmcnt(0) lgkmcnt(0)
	buffer_gl1_inv
	buffer_gl0_inv
	v_cmpx_ne_u32_e32 0, v1
	s_cbranch_execz .LBB4_563
; %bb.570:                              ;   in Loop: Header=BB4_566 Depth=2
	ds_store_b32 v0, v1
	s_cbranch_execnz .LBB4_1296
; %bb.571:                              ;   in Loop: Header=BB4_566 Depth=2
	v_or_b32_e32 v50, 64, v50
	s_xor_b32 s35, exec_lo, -1
	s_branch .LBB4_563
.LBB4_572:                              ;   in Loop: Header=BB4_107 Depth=1
	s_or_b32 exec_lo, exec_lo, vcc_hi
	v_and_b32_e32 v1, 4, v50
.LBB4_573:                              ;   in Loop: Header=BB4_107 Depth=1
	s_or_b32 exec_lo, exec_lo, s28
	s_delay_alu instid0(VALU_DEP_1)
	v_cmp_eq_u32_e32 vcc_lo, 0, v1
	;;#ASMSTART
	s_wakeup
	;;#ASMEND
	s_or_not1_b32 s28, vcc_lo, exec_lo
.LBB4_574:                              ;   in Loop: Header=BB4_107 Depth=1
	s_or_b32 exec_lo, exec_lo, s16
	s_xor_b32 s16, s28, -1
	s_delay_alu instid0(SALU_CYCLE_1)
	s_and_saveexec_b32 s28, s16
	s_cbranch_execz .LBB4_584
; %bb.575:                              ;   in Loop: Header=BB4_107 Depth=1
	v_and_b32_e32 v1, 0x100, v50
	s_mov_b32 s16, -1
                                        ; implicit-def: $vgpr10_vgpr11
	s_delay_alu instid0(VALU_DEP_1)
	v_cmp_ne_u32_e32 vcc_lo, 0, v1
	v_and_b32_e32 v1, 7, v8
	s_and_saveexec_b32 vcc_hi, vcc_lo
	s_cbranch_execz .LBB4_579
; %bb.576:                              ;   in Loop: Header=BB4_107 Depth=1
	s_delay_alu instid0(VALU_DEP_1) | instskip(SKIP_4) | instid1(VALU_DEP_1)
	v_mad_u64_u32 v[12:13], null, v1, 24, v[6:7]
	flat_load_b32 v10, v[12:13]
	s_waitcnt vmcnt(0) lgkmcnt(0)
	v_cmp_ne_u32_e32 vcc_lo, 1, v10
	v_cmp_eq_u32_e64 s16, 1, v10
                                        ; implicit-def: $vgpr10_vgpr11
	s_and_saveexec_b32 s30, s16
	s_cbranch_execz .LBB4_578
; %bb.577:                              ;   in Loop: Header=BB4_107 Depth=1
	flat_load_b32 v10, v[12:13] offset:4 glc
	s_waitcnt vmcnt(0) lgkmcnt(0)
	v_ashrrev_i32_e32 v11, 31, v10
.LBB4_578:                              ;   in Loop: Header=BB4_107 Depth=1
	s_or_b32 exec_lo, exec_lo, s30
	s_delay_alu instid0(SALU_CYCLE_1)
	s_or_not1_b32 s16, vcc_lo, exec_lo
.LBB4_579:                              ;   in Loop: Header=BB4_107 Depth=1
	s_or_b32 exec_lo, exec_lo, vcc_hi
	s_and_saveexec_b32 vcc_lo, s16
; %bb.580:                              ;   in Loop: Header=BB4_107 Depth=1
	v_mad_i64_i32 v[10:11], null, v1, v51, 0
; %bb.581:                              ;   in Loop: Header=BB4_107 Depth=1
	s_or_b32 exec_lo, exec_lo, vcc_lo
	s_delay_alu instid0(VALU_DEP_1) | instskip(SKIP_1) | instid1(VALU_DEP_3)
	v_add_co_u32 v10, vcc_lo, v22, v10
	v_and_b32_e32 v1, 0x2000, v50
	v_add_co_ci_u32_e32 v11, vcc_lo, v23, v11, vcc_lo
	s_mov_b32 s16, exec_lo
	ds_store_b64 v0, v[10:11] offset:720
	v_cmpx_ne_u32_e32 0, v1
	s_cbranch_execz .LBB4_583
; %bb.582:                              ;   in Loop: Header=BB4_107 Depth=1
	ds_load_b64 v[10:11], v0 offset:584
	s_waitcnt lgkmcnt(0)
	v_add_co_u32 v10, vcc_lo, v10, 1
	v_add_co_ci_u32_e32 v11, vcc_lo, 0, v11, vcc_lo
	ds_store_b64 v0, v[10:11] offset:584
.LBB4_583:                              ;   in Loop: Header=BB4_107 Depth=1
	s_or_b32 exec_lo, exec_lo, s16
	v_add_co_u32 v8, vcc_lo, v8, 1
	v_add_co_ci_u32_e32 v9, vcc_lo, 0, v9, vcc_lo
.LBB4_584:                              ;   in Loop: Header=BB4_107 Depth=1
	s_or_b32 exec_lo, exec_lo, s28
	s_and_saveexec_b32 s16, s3
	s_cbranch_execz .LBB4_606
; %bb.585:                              ;   in Loop: Header=BB4_107 Depth=1
	s_and_saveexec_b32 s28, s4
	s_delay_alu instid0(SALU_CYCLE_1)
	s_xor_b32 s28, exec_lo, s28
	s_cbranch_execz .LBB4_603
; %bb.586:                              ;   in Loop: Header=BB4_107 Depth=1
	s_and_saveexec_b32 vcc_hi, s5
	s_cbranch_execz .LBB4_602
; %bb.587:                              ;   in Loop: Header=BB4_107 Depth=1
	s_mov_b32 s31, exec_lo
	s_mov_b32 s30, exec_lo
	v_mbcnt_lo_u32_b32 v1, s31, 0
	s_waitcnt lgkmcnt(0)
	s_waitcnt_vscnt null, 0x0
	buffer_gl1_inv
	buffer_gl0_inv
	v_cmpx_eq_u32_e32 0, v1
	s_cbranch_execz .LBB4_589
; %bb.588:                              ;   in Loop: Header=BB4_107 Depth=1
	s_bcnt1_i32_b32 vcc_lo, s31
	s_delay_alu instid0(SALU_CYCLE_1)
	v_mov_b32_e32 v1, vcc_lo
	ds_add_u64 v0, v[1:2]
	s_cbranch_execnz .LBB4_1334
.LBB4_589:                              ;   in Loop: Header=BB4_107 Depth=1
	s_or_b32 exec_lo, exec_lo, s30
	s_cbranch_execnz .LBB4_1308
; %bb.590:                              ;   in Loop: Header=BB4_107 Depth=1
	ds_load_b64 v[10:11], v0
	v_add_co_u32 v26, vcc_lo, v26, v54
	v_add_co_ci_u32_e32 v27, vcc_lo, 0, v27, vcc_lo
	s_mov_b32 s30, exec_lo
	s_waitcnt lgkmcnt(0)
	s_delay_alu instid0(VALU_DEP_1)
	v_cmpx_lt_u64_e64 v[10:11], v[26:27]
	s_cbranch_execz .LBB4_601
; %bb.591:                              ;   in Loop: Header=BB4_107 Depth=1
	s_mov_b32 s31, 0
	s_mov_b32 s36, 0
                                        ; implicit-def: $sgpr34
                                        ; implicit-def: $sgpr35
	s_branch .LBB4_593
.LBB4_592:                              ;   in Loop: Header=BB4_593 Depth=2
	s_or_b32 exec_lo, exec_lo, s38
	s_delay_alu instid0(SALU_CYCLE_1) | instskip(NEXT) | instid1(SALU_CYCLE_1)
	s_and_b32 vcc_lo, exec_lo, vcc_lo
	s_or_b32 s31, vcc_lo, s31
	s_and_not1_b32 vcc_lo, s34, exec_lo
	s_and_b32 s34, s35, exec_lo
	s_delay_alu instid0(SALU_CYCLE_1)
	s_or_b32 s34, vcc_lo, s34
	s_and_not1_b32 exec_lo, exec_lo, s31
	s_cbranch_execz .LBB4_599
.LBB4_593:                              ;   Parent Loop BB4_107 Depth=1
                                        ; =>  This Inner Loop Header: Depth=2
	s_add_i32 s36, s36, 1
                                        ; implicit-def: $sgpr38
	s_delay_alu instid0(SALU_CYCLE_1) | instskip(SKIP_1) | instid1(SALU_CYCLE_1)
	s_cmpk_lg_i32 s36, 0x2710
	s_cselect_b32 s37, -1, 0
	s_and_b32 vcc_lo, exec_lo, s37
	s_cbranch_vccz .LBB4_597
.LBB4_594:                              ;   in Loop: Header=BB4_593 Depth=2
	s_and_not1_b32 s35, s35, exec_lo
	s_and_b32 s38, s38, exec_lo
	s_mov_b32 vcc_lo, -1
	s_or_b32 s35, s35, s38
	s_and_saveexec_b32 s38, s37
	s_cbranch_execz .LBB4_592
; %bb.595:                              ;   in Loop: Header=BB4_593 Depth=2
	s_sleep 1
	s_cbranch_execnz .LBB4_1380
; %bb.596:                              ;   in Loop: Header=BB4_593 Depth=2
	ds_load_b64 v[10:11], v0
	s_and_not1_b32 s35, s35, exec_lo
	s_waitcnt lgkmcnt(0)
	v_cmp_ge_u64_e32 vcc_lo, v[10:11], v[26:27]
	s_or_not1_b32 vcc_lo, vcc_lo, exec_lo
	s_branch .LBB4_592
.LBB4_597:                              ;   in Loop: Header=BB4_593 Depth=2
	s_cbranch_execnz .LBB4_1396
; %bb.598:                              ;   in Loop: Header=BB4_593 Depth=2
	ds_load_b64 v[10:11], v0
	s_and_not1_b32 s37, s37, exec_lo
	s_mov_b32 s36, 0
	s_mov_b32 s38, -1
	s_waitcnt lgkmcnt(0)
	flat_load_b32 v1, v[10:11] glc
	s_waitcnt vmcnt(0) lgkmcnt(0)
	buffer_gl1_inv
	buffer_gl0_inv
	v_cmp_eq_u32_e32 vcc_lo, 0, v1
	s_and_b32 vcc_lo, vcc_lo, exec_lo
	s_delay_alu instid0(SALU_CYCLE_1)
	s_or_b32 s37, s37, vcc_lo
	s_branch .LBB4_594
.LBB4_599:                              ;   in Loop: Header=BB4_107 Depth=1
	s_or_b32 exec_lo, exec_lo, s31
	s_and_saveexec_b32 vcc_lo, s34
	s_delay_alu instid0(SALU_CYCLE_1)
	s_xor_b32 vcc_lo, exec_lo, vcc_lo
	s_cbranch_execz .LBB4_601
; %bb.600:                              ;   in Loop: Header=BB4_107 Depth=1
	ds_store_b32 v0, v98
	s_cbranch_execnz .LBB4_1559
.LBB4_601:                              ;   in Loop: Header=BB4_107 Depth=1
	s_or_b32 exec_lo, exec_lo, s30
	;;#ASMSTART
	s_wakeup
	;;#ASMEND
.LBB4_602:                              ;   in Loop: Header=BB4_107 Depth=1
	s_or_b32 exec_lo, exec_lo, vcc_hi
.LBB4_603:                              ;   in Loop: Header=BB4_107 Depth=1
	s_and_not1_saveexec_b32 s28, s28
	s_cbranch_execz .LBB4_605
; %bb.604:                              ;   in Loop: Header=BB4_107 Depth=1
	s_waitcnt lgkmcnt(0)
	s_waitcnt_vscnt null, 0x0
	buffer_gl1_inv
	buffer_gl0_inv
	s_barrier
.LBB4_605:                              ;   in Loop: Header=BB4_107 Depth=1
	s_or_b32 exec_lo, exec_lo, s28
.LBB4_606:                              ;   in Loop: Header=BB4_107 Depth=1
	s_delay_alu instid0(SALU_CYCLE_1) | instskip(SKIP_1) | instid1(SALU_CYCLE_1)
	s_or_b32 exec_lo, exec_lo, s16
	s_and_saveexec_b32 s16, s11
	s_xor_b32 s28, exec_lo, s16
	s_cbranch_execz .LBB4_611
; %bb.607:                              ;   in Loop: Header=BB4_107 Depth=1
	s_cbranch_execnz .LBB4_1258
; %bb.608:                              ;   in Loop: Header=BB4_107 Depth=1
	ds_load_b32 v1, v0
	v_sub_nc_u32_e32 v10, v99, v39
	s_delay_alu instid0(VALU_DEP_1) | instskip(NEXT) | instid1(VALU_DEP_1)
	v_min_i32_e32 v10, v38, v10
	v_cmp_lt_i32_e32 vcc_lo, 0, v10
	s_waitcnt lgkmcnt(0)
	v_readfirstlane_b32 s16, v1
	v_and_b32_e32 v1, 16, v50
	s_delay_alu instid0(VALU_DEP_2) | instskip(NEXT) | instid1(VALU_DEP_1)
	s_cmp_eq_u32 s16, 0
	v_cmp_ne_u32_e64 s16, 0, v1
	s_cselect_b32 vcc_hi, -1, 0
	s_delay_alu instid0(SALU_CYCLE_1)
	s_and_b32 vcc_lo, vcc_lo, vcc_hi
	s_delay_alu instid0(VALU_DEP_1) | instid1(SALU_CYCLE_1)
	s_and_b32 vcc_lo, s16, vcc_lo
	s_delay_alu instid0(SALU_CYCLE_1)
	s_and_saveexec_b32 s16, vcc_lo
	s_cbranch_execz .LBB4_610
; %bb.609:                              ;   in Loop: Header=BB4_107 Depth=1
	s_waitcnt_vscnt null, 0x0
	buffer_gl1_inv
	buffer_gl0_inv
.LBB4_610:                              ;   in Loop: Header=BB4_107 Depth=1
	s_or_b32 exec_lo, exec_lo, s16
.LBB4_611:                              ;   in Loop: Header=BB4_107 Depth=1
	s_and_not1_saveexec_b32 s16, s28
	s_cbranch_execz .LBB4_633
; %bb.612:                              ;   in Loop: Header=BB4_107 Depth=1
	s_and_saveexec_b32 s28, s4
	s_delay_alu instid0(SALU_CYCLE_1)
	s_xor_b32 s28, exec_lo, s28
	s_cbranch_execz .LBB4_630
; %bb.613:                              ;   in Loop: Header=BB4_107 Depth=1
	s_and_saveexec_b32 vcc_hi, s5
	s_cbranch_execz .LBB4_629
; %bb.614:                              ;   in Loop: Header=BB4_107 Depth=1
	s_mov_b32 s31, exec_lo
	s_mov_b32 s30, exec_lo
	v_mbcnt_lo_u32_b32 v1, s31, 0
	;;#ASMSTART
	s_waitcnt lgkmcnt(0) vmcnt(0)
	;;#ASMEND
	s_delay_alu instid0(VALU_DEP_1)
	v_cmpx_eq_u32_e32 0, v1
	s_cbranch_execz .LBB4_616
; %bb.615:                              ;   in Loop: Header=BB4_107 Depth=1
	s_bcnt1_i32_b32 vcc_lo, s31
	s_delay_alu instid0(SALU_CYCLE_1)
	v_mov_b32_e32 v1, vcc_lo
	ds_add_u64 v0, v[1:2]
	s_cbranch_execnz .LBB4_1352
.LBB4_616:                              ;   in Loop: Header=BB4_107 Depth=1
	s_or_b32 exec_lo, exec_lo, s30
	s_cbranch_execnz .LBB4_1332
; %bb.617:                              ;   in Loop: Header=BB4_107 Depth=1
	ds_load_b64 v[10:11], v0
	v_add_co_u32 v26, vcc_lo, v26, v54
	v_add_co_ci_u32_e32 v27, vcc_lo, 0, v27, vcc_lo
	s_mov_b32 s30, exec_lo
	s_waitcnt lgkmcnt(0)
	s_delay_alu instid0(VALU_DEP_1)
	v_cmpx_lt_u64_e64 v[10:11], v[26:27]
	s_cbranch_execz .LBB4_628
; %bb.618:                              ;   in Loop: Header=BB4_107 Depth=1
	s_mov_b32 s31, 0
	s_mov_b32 s36, 0
                                        ; implicit-def: $sgpr34
                                        ; implicit-def: $sgpr35
	s_branch .LBB4_620
.LBB4_619:                              ;   in Loop: Header=BB4_620 Depth=2
	s_or_b32 exec_lo, exec_lo, s38
	s_delay_alu instid0(SALU_CYCLE_1) | instskip(NEXT) | instid1(SALU_CYCLE_1)
	s_and_b32 vcc_lo, exec_lo, vcc_lo
	s_or_b32 s31, vcc_lo, s31
	s_and_not1_b32 vcc_lo, s34, exec_lo
	s_and_b32 s34, s35, exec_lo
	s_delay_alu instid0(SALU_CYCLE_1)
	s_or_b32 s34, vcc_lo, s34
	s_and_not1_b32 exec_lo, exec_lo, s31
	s_cbranch_execz .LBB4_626
.LBB4_620:                              ;   Parent Loop BB4_107 Depth=1
                                        ; =>  This Inner Loop Header: Depth=2
	s_add_i32 s36, s36, 1
                                        ; implicit-def: $sgpr38
	s_delay_alu instid0(SALU_CYCLE_1) | instskip(SKIP_1) | instid1(SALU_CYCLE_1)
	s_cmpk_lg_i32 s36, 0x2710
	s_cselect_b32 s37, -1, 0
	s_and_b32 vcc_lo, exec_lo, s37
	s_cbranch_vccz .LBB4_624
.LBB4_621:                              ;   in Loop: Header=BB4_620 Depth=2
	s_and_not1_b32 s35, s35, exec_lo
	s_and_b32 s38, s38, exec_lo
	s_mov_b32 vcc_lo, -1
	s_or_b32 s35, s35, s38
	s_and_saveexec_b32 s38, s37
	s_cbranch_execz .LBB4_619
; %bb.622:                              ;   in Loop: Header=BB4_620 Depth=2
	s_sleep 1
	s_cbranch_execnz .LBB4_1420
; %bb.623:                              ;   in Loop: Header=BB4_620 Depth=2
	ds_load_b64 v[10:11], v0
	s_and_not1_b32 s35, s35, exec_lo
	s_waitcnt lgkmcnt(0)
	v_cmp_ge_u64_e32 vcc_lo, v[10:11], v[26:27]
	s_or_not1_b32 vcc_lo, vcc_lo, exec_lo
	s_branch .LBB4_619
.LBB4_624:                              ;   in Loop: Header=BB4_620 Depth=2
	s_cbranch_execnz .LBB4_1453
; %bb.625:                              ;   in Loop: Header=BB4_620 Depth=2
	ds_load_b64 v[10:11], v0
	s_and_not1_b32 s37, s37, exec_lo
	s_mov_b32 s36, 0
	s_mov_b32 s38, -1
	s_waitcnt lgkmcnt(0)
	s_waitcnt_vscnt null, 0x0
	flat_load_b32 v1, v[10:11] glc
	s_waitcnt vmcnt(0) lgkmcnt(0)
	buffer_gl1_inv
	buffer_gl0_inv
	v_cmp_eq_u32_e32 vcc_lo, 0, v1
	s_and_b32 vcc_lo, vcc_lo, exec_lo
	s_delay_alu instid0(SALU_CYCLE_1)
	s_or_b32 s37, s37, vcc_lo
	s_branch .LBB4_621
.LBB4_626:                              ;   in Loop: Header=BB4_107 Depth=1
	s_or_b32 exec_lo, exec_lo, s31
	s_and_saveexec_b32 vcc_lo, s34
	s_delay_alu instid0(SALU_CYCLE_1)
	s_xor_b32 vcc_lo, exec_lo, vcc_lo
	s_cbranch_execz .LBB4_628
; %bb.627:                              ;   in Loop: Header=BB4_107 Depth=1
	ds_store_b32 v0, v98
	s_cbranch_execnz .LBB4_1573
.LBB4_628:                              ;   in Loop: Header=BB4_107 Depth=1
	s_or_b32 exec_lo, exec_lo, s30
	;;#ASMSTART
	s_wakeup
	;;#ASMEND
.LBB4_629:                              ;   in Loop: Header=BB4_107 Depth=1
	s_or_b32 exec_lo, exec_lo, vcc_hi
.LBB4_630:                              ;   in Loop: Header=BB4_107 Depth=1
	s_and_not1_saveexec_b32 s28, s28
	s_cbranch_execz .LBB4_632
; %bb.631:                              ;   in Loop: Header=BB4_107 Depth=1
	;;#ASMSTART
	s_waitcnt lgkmcnt(0) vmcnt(0)
	;;#ASMEND
	s_waitcnt lgkmcnt(0)
	s_waitcnt_vscnt null, 0x0
	s_barrier
.LBB4_632:                              ;   in Loop: Header=BB4_107 Depth=1
	s_or_b32 exec_lo, exec_lo, s28
.LBB4_633:                              ;   in Loop: Header=BB4_107 Depth=1
	s_delay_alu instid0(SALU_CYCLE_1) | instskip(SKIP_2) | instid1(VALU_DEP_1)
	s_or_b32 exec_lo, exec_lo, s16
	v_and_b32_e32 v1, 32, v50
	s_and_not1_b32 s16, s18, exec_lo
	v_cmp_ne_u32_e32 vcc_lo, 0, v1
	s_and_b32 s28, vcc_lo, exec_lo
	s_delay_alu instid0(SALU_CYCLE_1)
	s_or_b32 s16, s16, s28
.LBB4_634:                              ;   in Loop: Header=BB4_107 Depth=1
	s_or_b32 exec_lo, exec_lo, s17
	s_delay_alu instid0(SALU_CYCLE_1) | instskip(SKIP_1) | instid1(SALU_CYCLE_1)
	s_and_not1_b32 s17, s18, exec_lo
	s_and_b32 s16, s16, exec_lo
	s_or_b32 s18, s17, s16
.LBB4_635:                              ;   in Loop: Header=BB4_107 Depth=1
	s_or_b32 exec_lo, exec_lo, s19
	s_delay_alu instid0(SALU_CYCLE_1)
	s_and_b32 s28, s18, exec_lo
                                        ; implicit-def: $vgpr38
                                        ; implicit-def: $vgpr99
                                        ; implicit-def: $vgpr1
                                        ; implicit-def: $vgpr10
.LBB4_636:                              ;   in Loop: Header=BB4_107 Depth=1
	s_and_not1_saveexec_b32 s29, s29
	s_cbranch_execz .LBB4_1161
; %bb.637:                              ;   in Loop: Header=BB4_107 Depth=1
	s_mov_b32 s18, 0
	s_mov_b32 s17, s28
	s_and_saveexec_b32 s16, s26
	s_delay_alu instid0(SALU_CYCLE_1)
	s_xor_b32 vcc_hi, exec_lo, s16
	s_cbranch_execz .LBB4_919
; %bb.638:                              ;   in Loop: Header=BB4_107 Depth=1
	v_mov_b32_e32 v12, 0
	s_and_saveexec_b32 s17, s15
	s_cbranch_execz .LBB4_841
; %bb.639:                              ;   in Loop: Header=BB4_107 Depth=1
	s_and_saveexec_b32 s18, s0
	s_cbranch_execz .LBB4_642
; %bb.640:                              ;   in Loop: Header=BB4_107 Depth=1
	s_cbranch_execnz .LBB4_1177
; %bb.641:                              ;   in Loop: Header=BB4_107 Depth=1
	ds_load_2addr_b64 v[100:103], v0 offset1:1
	ds_load_b64 v[11:12], v0
	s_waitcnt lgkmcnt(1)
	v_add_co_u32 v48, vcc_lo, v100, v1
	v_add_co_ci_u32_e32 v49, vcc_lo, v101, v10, vcc_lo
	s_waitcnt lgkmcnt(0)
	v_add_co_u32 v13, vcc_lo, v11, v1
	v_add_co_ci_u32_e32 v39, vcc_lo, v12, v10, vcc_lo
	v_cmp_ne_u64_e32 vcc_lo, 0, v[11:12]
	v_add_co_u32 v11, s16, v102, v1
	s_delay_alu instid0(VALU_DEP_1) | instskip(NEXT) | instid1(VALU_DEP_4)
	v_add_co_ci_u32_e64 v12, s16, v103, v10, s16
	v_dual_cndmask_b32 v101, 0, v39 :: v_dual_cndmask_b32 v100, 0, v13
	ds_store_b64 v0, v[48:49]
	ds_store_b64 v0, v[11:12]
	ds_store_b64 v0, v[100:101]
.LBB4_642:                              ;   in Loop: Header=BB4_107 Depth=1
	s_or_b32 exec_lo, exec_lo, s18
	v_and_b32_e32 v1, 8, v50
	s_mov_b32 s18, -1
	s_mov_b32 s16, exec_lo
	s_delay_alu instid0(VALU_DEP_1)
	v_cmpx_ne_u32_e32 0, v1
                                        ; implicit-def: $vgpr42 : SGPR spill to VGPR lane
	v_writelane_b32 v42, s17, 0
	s_cbranch_execz .LBB4_656
; %bb.643:                              ;   in Loop: Header=BB4_107 Depth=1
	v_add_co_u32 v12, vcc_lo, v28, 8
	v_add_co_ci_u32_e32 v13, vcc_lo, 0, v29, vcc_lo
	v_add_co_u32 v10, vcc_lo, v8, 1
	v_add_co_ci_u32_e32 v11, vcc_lo, 0, v9, vcc_lo
	v_mov_b32_e32 v1, 1
	s_mov_b32 s17, exec_lo
	s_delay_alu instid0(VALU_DEP_2)
	v_cmpx_lt_u64_e64 v[12:13], v[10:11]
	s_cbranch_execz .LBB4_655
; %bb.644:                              ;   in Loop: Header=BB4_107 Depth=1
	v_mov_b32_e32 v1, 0
	s_mov_b32 s18, 0
                                        ; implicit-def: $sgpr19
	s_branch .LBB4_648
.LBB4_645:                              ;   in Loop: Header=BB4_648 Depth=2
	s_or_b32 exec_lo, exec_lo, s35
	v_mov_b32_e32 v12, 0
	s_or_not1_b32 s34, s34, exec_lo
.LBB4_646:                              ;   in Loop: Header=BB4_648 Depth=2
	s_or_b32 exec_lo, exec_lo, s31
	s_delay_alu instid0(VALU_DEP_1) | instskip(SKIP_2) | instid1(SALU_CYCLE_1)
	v_mov_b32_e32 v1, v12
	s_and_not1_b32 s19, s19, exec_lo
	s_and_b32 vcc_lo, s34, exec_lo
	s_or_b32 s19, s19, vcc_lo
.LBB4_647:                              ;   in Loop: Header=BB4_648 Depth=2
	s_or_b32 exec_lo, exec_lo, s30
	s_waitcnt vmcnt(0) lgkmcnt(0)
	v_add_co_u32 v12, vcc_lo, v28, 8
	v_add_co_ci_u32_e32 v13, vcc_lo, 0, v29, vcc_lo
	s_xor_b32 s30, s19, -1
	s_delay_alu instid0(VALU_DEP_1) | instskip(SKIP_1) | instid1(SALU_CYCLE_1)
	v_cmp_ge_u64_e32 vcc_lo, v[12:13], v[10:11]
	s_or_b32 vcc_lo, s30, vcc_lo
	s_and_b32 vcc_lo, exec_lo, vcc_lo
	s_delay_alu instid0(SALU_CYCLE_1) | instskip(NEXT) | instid1(SALU_CYCLE_1)
	s_or_b32 s18, vcc_lo, s18
	s_and_not1_b32 exec_lo, exec_lo, s18
	s_cbranch_execz .LBB4_654
.LBB4_648:                              ;   Parent Loop BB4_107 Depth=1
                                        ; =>  This Inner Loop Header: Depth=2
	s_sleep 1
	flat_load_b64 v[28:29], v[20:21] glc
	v_and_b32_e32 v12, 64, v50
	s_and_not1_b32 s19, s19, exec_lo
	s_mov_b32 s30, exec_lo
	s_delay_alu instid0(VALU_DEP_1)
	v_cmpx_eq_u32_e32 0, v12
	s_cbranch_execz .LBB4_647
; %bb.649:                              ;   in Loop: Header=BB4_648 Depth=2
	v_add_nc_u32_e32 v12, 1, v1
	s_mov_b32 s34, -1
	s_mov_b32 s31, exec_lo
	v_cmpx_lt_i32_e32 0x270e, v1
	s_cbranch_execz .LBB4_646
; %bb.650:                              ;   in Loop: Header=BB4_648 Depth=2
	s_cbranch_execnz .LBB4_1229
; %bb.651:                              ;   in Loop: Header=BB4_648 Depth=2
	ds_load_b64 v[12:13], v0
	s_mov_b32 s35, exec_lo
	s_waitcnt vmcnt(0) lgkmcnt(0)
	s_waitcnt_vscnt null, 0x0
	flat_load_b32 v1, v[12:13] glc
	s_waitcnt vmcnt(0) lgkmcnt(0)
	buffer_gl1_inv
	buffer_gl0_inv
	v_cmpx_ne_u32_e32 0, v1
	s_cbranch_execz .LBB4_645
; %bb.652:                              ;   in Loop: Header=BB4_648 Depth=2
	ds_store_b32 v0, v1
	s_cbranch_execnz .LBB4_1272
; %bb.653:                              ;   in Loop: Header=BB4_648 Depth=2
	v_or_b32_e32 v50, 64, v50
	s_xor_b32 s34, exec_lo, -1
	s_branch .LBB4_645
.LBB4_654:                              ;   in Loop: Header=BB4_107 Depth=1
	s_or_b32 exec_lo, exec_lo, s18
	v_and_b32_e32 v1, 8, v50
.LBB4_655:                              ;   in Loop: Header=BB4_107 Depth=1
	s_or_b32 exec_lo, exec_lo, s17
	s_delay_alu instid0(VALU_DEP_1)
	v_cmp_eq_u32_e32 vcc_lo, 0, v1
	;;#ASMSTART
	s_wakeup
	;;#ASMEND
	s_or_not1_b32 s18, vcc_lo, exec_lo
.LBB4_656:                              ;   in Loop: Header=BB4_107 Depth=1
	s_or_b32 exec_lo, exec_lo, s16
	v_min_i32_e32 v38, v38, v99
	s_xor_b32 s16, s18, -1
	s_delay_alu instid0(SALU_CYCLE_1)
	s_and_saveexec_b32 s17, s16
	s_cbranch_execz .LBB4_666
; %bb.657:                              ;   in Loop: Header=BB4_107 Depth=1
	v_and_b32_e32 v1, 0x100, v50
	s_mov_b32 s16, -1
                                        ; implicit-def: $vgpr10_vgpr11
	s_delay_alu instid0(VALU_DEP_1)
	v_cmp_ne_u32_e32 vcc_lo, 0, v1
	v_and_b32_e32 v1, 7, v8
	s_and_saveexec_b32 s18, vcc_lo
	s_cbranch_execz .LBB4_661
; %bb.658:                              ;   in Loop: Header=BB4_107 Depth=1
	s_delay_alu instid0(VALU_DEP_1)
	v_mad_u64_u32 v[12:13], null, v1, 24, v[6:7]
	v_ashrrev_i32_e32 v39, 31, v38
	flat_load_b32 v10, v[12:13]
	flat_store_b64 v[12:13], v[38:39] offset:8
	s_waitcnt vmcnt(0) lgkmcnt(1)
	v_cmp_ne_u32_e32 vcc_lo, 1, v10
	v_cmp_eq_u32_e64 s16, 1, v10
                                        ; implicit-def: $vgpr10_vgpr11
	s_delay_alu instid0(VALU_DEP_1)
	s_and_saveexec_b32 s19, s16
	s_cbranch_execz .LBB4_660
; %bb.659:                              ;   in Loop: Header=BB4_107 Depth=1
	flat_load_b32 v10, v[12:13] offset:4 glc
	s_waitcnt vmcnt(0) lgkmcnt(0)
	v_ashrrev_i32_e32 v11, 31, v10
.LBB4_660:                              ;   in Loop: Header=BB4_107 Depth=1
	s_or_b32 exec_lo, exec_lo, s19
	s_delay_alu instid0(SALU_CYCLE_1)
	s_or_not1_b32 s16, vcc_lo, exec_lo
.LBB4_661:                              ;   in Loop: Header=BB4_107 Depth=1
	s_or_b32 exec_lo, exec_lo, s18
	s_and_saveexec_b32 s18, s16
; %bb.662:                              ;   in Loop: Header=BB4_107 Depth=1
	v_mad_i64_i32 v[10:11], null, v1, v51, 0
; %bb.663:                              ;   in Loop: Header=BB4_107 Depth=1
	s_or_b32 exec_lo, exec_lo, s18
	s_delay_alu instid0(VALU_DEP_1) | instskip(SKIP_1) | instid1(VALU_DEP_3)
	v_add_co_u32 v10, vcc_lo, v22, v10
	v_and_b32_e32 v1, 0x2000, v50
	v_add_co_ci_u32_e32 v11, vcc_lo, v23, v11, vcc_lo
	s_mov_b32 s16, exec_lo
	ds_store_b64 v0, v[10:11] offset:792
	v_cmpx_ne_u32_e32 0, v1
	s_cbranch_execz .LBB4_665
; %bb.664:                              ;   in Loop: Header=BB4_107 Depth=1
	ds_load_b64 v[10:11], v0 offset:584
	s_waitcnt lgkmcnt(0)
	v_add_co_u32 v10, vcc_lo, v10, 1
	v_add_co_ci_u32_e32 v11, vcc_lo, 0, v11, vcc_lo
	ds_store_b64 v0, v[10:11] offset:584
.LBB4_665:                              ;   in Loop: Header=BB4_107 Depth=1
	s_or_b32 exec_lo, exec_lo, s16
	v_add_co_u32 v8, vcc_lo, v8, 1
	v_add_co_ci_u32_e32 v9, vcc_lo, 0, v9, vcc_lo
.LBB4_666:                              ;   in Loop: Header=BB4_107 Depth=1
	s_or_b32 exec_lo, exec_lo, s17
	s_and_saveexec_b32 s16, s3
	s_cbranch_execz .LBB4_688
; %bb.667:                              ;   in Loop: Header=BB4_107 Depth=1
	s_and_saveexec_b32 s17, s4
	s_delay_alu instid0(SALU_CYCLE_1)
	s_xor_b32 s17, exec_lo, s17
	s_cbranch_execz .LBB4_685
; %bb.668:                              ;   in Loop: Header=BB4_107 Depth=1
	s_and_saveexec_b32 s18, s5
	s_cbranch_execz .LBB4_684
; %bb.669:                              ;   in Loop: Header=BB4_107 Depth=1
	s_mov_b32 s30, exec_lo
	s_mov_b32 s19, exec_lo
	v_mbcnt_lo_u32_b32 v1, s30, 0
	s_waitcnt lgkmcnt(0)
	s_waitcnt_vscnt null, 0x0
	buffer_gl1_inv
	buffer_gl0_inv
	v_cmpx_eq_u32_e32 0, v1
	s_cbranch_execz .LBB4_671
; %bb.670:                              ;   in Loop: Header=BB4_107 Depth=1
	s_bcnt1_i32_b32 vcc_lo, s30
	s_delay_alu instid0(SALU_CYCLE_1)
	v_mov_b32_e32 v1, vcc_lo
	ds_add_u64 v0, v[1:2]
	s_cbranch_execnz .LBB4_1306
.LBB4_671:                              ;   in Loop: Header=BB4_107 Depth=1
	s_or_b32 exec_lo, exec_lo, s19
	s_cbranch_execnz .LBB4_1286
; %bb.672:                              ;   in Loop: Header=BB4_107 Depth=1
	ds_load_b64 v[10:11], v0
	v_add_co_u32 v26, vcc_lo, v26, v54
	v_add_co_ci_u32_e32 v27, vcc_lo, 0, v27, vcc_lo
	s_mov_b32 s19, exec_lo
	s_waitcnt lgkmcnt(0)
	s_delay_alu instid0(VALU_DEP_1)
	v_cmpx_lt_u64_e64 v[10:11], v[26:27]
	s_cbranch_execz .LBB4_683
; %bb.673:                              ;   in Loop: Header=BB4_107 Depth=1
	s_mov_b32 s30, 0
	s_mov_b32 s35, 0
                                        ; implicit-def: $sgpr31
                                        ; implicit-def: $sgpr34
	s_branch .LBB4_675
.LBB4_674:                              ;   in Loop: Header=BB4_675 Depth=2
	s_or_b32 exec_lo, exec_lo, s37
	s_delay_alu instid0(SALU_CYCLE_1) | instskip(NEXT) | instid1(SALU_CYCLE_1)
	s_and_b32 vcc_lo, exec_lo, vcc_lo
	s_or_b32 s30, vcc_lo, s30
	s_and_not1_b32 vcc_lo, s31, exec_lo
	s_and_b32 s31, s34, exec_lo
	s_delay_alu instid0(SALU_CYCLE_1)
	s_or_b32 s31, vcc_lo, s31
	s_and_not1_b32 exec_lo, exec_lo, s30
	s_cbranch_execz .LBB4_681
.LBB4_675:                              ;   Parent Loop BB4_107 Depth=1
                                        ; =>  This Inner Loop Header: Depth=2
	s_add_i32 s35, s35, 1
                                        ; implicit-def: $sgpr37
	s_delay_alu instid0(SALU_CYCLE_1) | instskip(SKIP_1) | instid1(SALU_CYCLE_1)
	s_cmpk_lg_i32 s35, 0x2710
	s_cselect_b32 s36, -1, 0
	s_and_b32 vcc_lo, exec_lo, s36
	s_cbranch_vccz .LBB4_679
.LBB4_676:                              ;   in Loop: Header=BB4_675 Depth=2
	s_and_not1_b32 s34, s34, exec_lo
	s_and_b32 s37, s37, exec_lo
	s_mov_b32 vcc_lo, -1
	s_or_b32 s34, s34, s37
	s_and_saveexec_b32 s37, s36
	s_cbranch_execz .LBB4_674
; %bb.677:                              ;   in Loop: Header=BB4_675 Depth=2
	s_sleep 1
	s_cbranch_execnz .LBB4_1358
; %bb.678:                              ;   in Loop: Header=BB4_675 Depth=2
	ds_load_b64 v[10:11], v0
	s_and_not1_b32 s34, s34, exec_lo
	s_waitcnt lgkmcnt(0)
	v_cmp_ge_u64_e32 vcc_lo, v[10:11], v[26:27]
	s_or_not1_b32 vcc_lo, vcc_lo, exec_lo
	s_branch .LBB4_674
.LBB4_679:                              ;   in Loop: Header=BB4_675 Depth=2
	s_cbranch_execnz .LBB4_1366
; %bb.680:                              ;   in Loop: Header=BB4_675 Depth=2
	ds_load_b64 v[10:11], v0
	s_and_not1_b32 s36, s36, exec_lo
	s_mov_b32 s35, 0
	s_mov_b32 s37, -1
	s_waitcnt lgkmcnt(0)
	flat_load_b32 v1, v[10:11] glc
	s_waitcnt vmcnt(0) lgkmcnt(0)
	buffer_gl1_inv
	buffer_gl0_inv
	v_cmp_eq_u32_e32 vcc_lo, 0, v1
	s_and_b32 vcc_lo, vcc_lo, exec_lo
	s_delay_alu instid0(SALU_CYCLE_1)
	s_or_b32 s36, s36, vcc_lo
	s_branch .LBB4_676
.LBB4_681:                              ;   in Loop: Header=BB4_107 Depth=1
	s_or_b32 exec_lo, exec_lo, s30
	s_and_saveexec_b32 vcc_lo, s31
	s_delay_alu instid0(SALU_CYCLE_1)
	s_xor_b32 vcc_lo, exec_lo, vcc_lo
	s_cbranch_execz .LBB4_683
; %bb.682:                              ;   in Loop: Header=BB4_107 Depth=1
	ds_store_b32 v0, v98
	s_cbranch_execnz .LBB4_1549
.LBB4_683:                              ;   in Loop: Header=BB4_107 Depth=1
	s_or_b32 exec_lo, exec_lo, s19
	;;#ASMSTART
	s_wakeup
	;;#ASMEND
.LBB4_684:                              ;   in Loop: Header=BB4_107 Depth=1
	s_or_b32 exec_lo, exec_lo, s18
.LBB4_685:                              ;   in Loop: Header=BB4_107 Depth=1
	s_and_not1_saveexec_b32 s17, s17
	s_cbranch_execz .LBB4_687
; %bb.686:                              ;   in Loop: Header=BB4_107 Depth=1
	s_waitcnt lgkmcnt(0)
	s_waitcnt_vscnt null, 0x0
	buffer_gl1_inv
	buffer_gl0_inv
	s_barrier
.LBB4_687:                              ;   in Loop: Header=BB4_107 Depth=1
	s_or_b32 exec_lo, exec_lo, s17
.LBB4_688:                              ;   in Loop: Header=BB4_107 Depth=1
	s_delay_alu instid0(SALU_CYCLE_1)
	s_or_b32 exec_lo, exec_lo, s16
	s_cbranch_execnz .LBB4_1175
; %bb.689:                              ;   in Loop: Header=BB4_107 Depth=1
	ds_load_b32 v10, v0
	v_and_b32_e32 v1, 0x4000, v50
	s_delay_alu instid0(VALU_DEP_1) | instskip(SKIP_1) | instid1(SALU_CYCLE_1)
	v_cmp_ne_u32_e32 vcc_lo, 0, v1
	s_and_b32 s17, s27, vcc_lo
	s_and_saveexec_b32 s16, s17
	s_cbranch_execz .LBB4_711
; %bb.690:                              ;   in Loop: Header=BB4_107 Depth=1
	s_and_saveexec_b32 s17, s4
	s_delay_alu instid0(SALU_CYCLE_1)
	s_xor_b32 s17, exec_lo, s17
	s_cbranch_execz .LBB4_708
; %bb.691:                              ;   in Loop: Header=BB4_107 Depth=1
	s_and_saveexec_b32 s18, s5
	s_cbranch_execz .LBB4_707
; %bb.692:                              ;   in Loop: Header=BB4_107 Depth=1
	s_mov_b32 s30, exec_lo
	s_mov_b32 s19, exec_lo
	v_mbcnt_lo_u32_b32 v1, s30, 0
	s_waitcnt lgkmcnt(0)
	s_waitcnt_vscnt null, 0x0
	buffer_gl1_inv
	buffer_gl0_inv
	v_cmpx_eq_u32_e32 0, v1
	s_cbranch_execz .LBB4_694
; %bb.693:                              ;   in Loop: Header=BB4_107 Depth=1
	s_bcnt1_i32_b32 vcc_lo, s30
	s_delay_alu instid0(SALU_CYCLE_1)
	v_mov_b32_e32 v1, vcc_lo
	ds_add_u64 v0, v[1:2]
	s_cbranch_execnz .LBB4_1350
.LBB4_694:                              ;   in Loop: Header=BB4_107 Depth=1
	s_or_b32 exec_lo, exec_lo, s19
	s_cbranch_execnz .LBB4_1330
; %bb.695:                              ;   in Loop: Header=BB4_107 Depth=1
	ds_load_b64 v[11:12], v0
	v_add_co_u32 v26, vcc_lo, v26, v54
	v_add_co_ci_u32_e32 v27, vcc_lo, 0, v27, vcc_lo
	s_mov_b32 s19, exec_lo
	s_waitcnt lgkmcnt(0)
	s_delay_alu instid0(VALU_DEP_1)
	v_cmpx_lt_u64_e64 v[11:12], v[26:27]
	s_cbranch_execz .LBB4_706
; %bb.696:                              ;   in Loop: Header=BB4_107 Depth=1
	s_mov_b32 s30, 0
	s_mov_b32 s35, 0
                                        ; implicit-def: $sgpr31
                                        ; implicit-def: $sgpr34
	s_branch .LBB4_698
.LBB4_697:                              ;   in Loop: Header=BB4_698 Depth=2
	s_or_b32 exec_lo, exec_lo, s37
	s_delay_alu instid0(SALU_CYCLE_1) | instskip(NEXT) | instid1(SALU_CYCLE_1)
	s_and_b32 vcc_lo, exec_lo, vcc_lo
	s_or_b32 s30, vcc_lo, s30
	s_and_not1_b32 vcc_lo, s31, exec_lo
	s_and_b32 s31, s34, exec_lo
	s_delay_alu instid0(SALU_CYCLE_1)
	s_or_b32 s31, vcc_lo, s31
	s_and_not1_b32 exec_lo, exec_lo, s30
	s_cbranch_execz .LBB4_704
.LBB4_698:                              ;   Parent Loop BB4_107 Depth=1
                                        ; =>  This Inner Loop Header: Depth=2
	s_add_i32 s35, s35, 1
                                        ; implicit-def: $sgpr37
	s_delay_alu instid0(SALU_CYCLE_1) | instskip(SKIP_1) | instid1(SALU_CYCLE_1)
	s_cmpk_lg_i32 s35, 0x2710
	s_cselect_b32 s36, -1, 0
	s_and_b32 vcc_lo, exec_lo, s36
	s_cbranch_vccz .LBB4_702
.LBB4_699:                              ;   in Loop: Header=BB4_698 Depth=2
	s_and_not1_b32 s34, s34, exec_lo
	s_and_b32 s37, s37, exec_lo
	s_mov_b32 vcc_lo, -1
	s_or_b32 s34, s34, s37
	s_and_saveexec_b32 s37, s36
	s_cbranch_execz .LBB4_697
; %bb.700:                              ;   in Loop: Header=BB4_698 Depth=2
	s_sleep 1
	s_cbranch_execnz .LBB4_1418
; %bb.701:                              ;   in Loop: Header=BB4_698 Depth=2
	ds_load_b64 v[11:12], v0
	s_and_not1_b32 s34, s34, exec_lo
	s_waitcnt lgkmcnt(0)
	v_cmp_ge_u64_e32 vcc_lo, v[11:12], v[26:27]
	s_or_not1_b32 vcc_lo, vcc_lo, exec_lo
	s_branch .LBB4_697
.LBB4_702:                              ;   in Loop: Header=BB4_698 Depth=2
	s_cbranch_execnz .LBB4_1451
; %bb.703:                              ;   in Loop: Header=BB4_698 Depth=2
	ds_load_b64 v[11:12], v0
	s_and_not1_b32 s36, s36, exec_lo
	s_mov_b32 s35, 0
	s_mov_b32 s37, -1
	s_waitcnt lgkmcnt(0)
	flat_load_b32 v1, v[11:12] glc
	s_waitcnt vmcnt(0) lgkmcnt(0)
	buffer_gl1_inv
	buffer_gl0_inv
	v_cmp_eq_u32_e32 vcc_lo, 0, v1
	s_and_b32 vcc_lo, vcc_lo, exec_lo
	s_delay_alu instid0(SALU_CYCLE_1)
	s_or_b32 s36, s36, vcc_lo
	s_branch .LBB4_699
.LBB4_704:                              ;   in Loop: Header=BB4_107 Depth=1
	s_or_b32 exec_lo, exec_lo, s30
	s_and_saveexec_b32 vcc_lo, s31
	s_delay_alu instid0(SALU_CYCLE_1)
	s_xor_b32 vcc_lo, exec_lo, vcc_lo
	s_cbranch_execz .LBB4_706
; %bb.705:                              ;   in Loop: Header=BB4_107 Depth=1
	ds_store_b32 v0, v98
	s_cbranch_execnz .LBB4_1571
.LBB4_706:                              ;   in Loop: Header=BB4_107 Depth=1
	s_or_b32 exec_lo, exec_lo, s19
	;;#ASMSTART
	s_wakeup
	;;#ASMEND
.LBB4_707:                              ;   in Loop: Header=BB4_107 Depth=1
	s_or_b32 exec_lo, exec_lo, s18
.LBB4_708:                              ;   in Loop: Header=BB4_107 Depth=1
	s_and_not1_saveexec_b32 s17, s17
	s_cbranch_execz .LBB4_710
; %bb.709:                              ;   in Loop: Header=BB4_107 Depth=1
	s_waitcnt lgkmcnt(0)
	s_waitcnt_vscnt null, 0x0
	buffer_gl1_inv
	buffer_gl0_inv
	s_barrier
.LBB4_710:                              ;   in Loop: Header=BB4_107 Depth=1
	s_or_b32 exec_lo, exec_lo, s17
.LBB4_711:                              ;   in Loop: Header=BB4_107 Depth=1
	s_delay_alu instid0(SALU_CYCLE_1)
	s_or_b32 exec_lo, exec_lo, s16
	s_cbranch_execnz .LBB4_1235
; %bb.712:                              ;   in Loop: Header=BB4_107 Depth=1
	ds_load_b64 v[11:12], v0
	s_waitcnt lgkmcnt(0)
	v_cmp_eq_u64_e32 vcc_lo, 0, v[11:12]
	s_or_b32 s16, vcc_lo, vcc_lo
	s_delay_alu instid0(SALU_CYCLE_1)
	s_and_b32 vcc_lo, exec_lo, s16
	s_mov_b32 s16, 0
	s_cbranch_vccnz .LBB4_788
; %bb.713:                              ;   in Loop: Header=BB4_107 Depth=1
	v_cmp_eq_u32_e32 vcc_lo, 0, v10
	s_cbranch_execnz .LBB4_1280
; %bb.714:                              ;   in Loop: Header=BB4_107 Depth=1
	ds_load_b64 v[10:11], v0
	v_cndmask_b32_e32 v1, 0, v38, vcc_lo
	s_waitcnt lgkmcnt(0)
	v_cmp_ne_u64_e64 s16, 0, v[10:11]
	s_delay_alu instid0(VALU_DEP_1)
	s_and_b32 vcc_lo, exec_lo, s16
	s_cbranch_vccz .LBB4_753
; %bb.715:                              ;   in Loop: Header=BB4_107 Depth=1
	s_mov_b32 s16, -1
	s_and_saveexec_b32 s17, s10
	s_cbranch_execz .LBB4_717
; %bb.716:                              ;   in Loop: Header=BB4_107 Depth=1
	ds_load_b32 v10, v0 offset:720
	s_waitcnt lgkmcnt(0)
	v_and_b32_e32 v10, 15, v10
	s_delay_alu instid0(VALU_DEP_1)
	v_cmp_eq_u32_e32 vcc_lo, 0, v10
	s_or_not1_b32 s16, vcc_lo, exec_lo
.LBB4_717:                              ;   in Loop: Header=BB4_107 Depth=1
	s_or_b32 exec_lo, exec_lo, s17
	s_and_saveexec_b32 s17, s7
	s_cbranch_execz .LBB4_719
; %bb.718:                              ;   in Loop: Header=BB4_107 Depth=1
	ds_load_b32 v10, v0 offset:784
	s_waitcnt lgkmcnt(0)
	v_and_b32_e32 v10, 15, v10
	s_delay_alu instid0(VALU_DEP_1) | instskip(SKIP_3) | instid1(SALU_CYCLE_1)
	v_cmp_eq_u32_e32 vcc_lo, 0, v10
	s_and_b32 s18, s16, vcc_lo
	s_and_not1_b32 s16, s16, exec_lo
	s_and_b32 s18, s18, exec_lo
	s_or_b32 s16, s16, s18
.LBB4_719:                              ;   in Loop: Header=BB4_107 Depth=1
	s_or_b32 exec_lo, exec_lo, s17
	s_xor_b32 s16, s16, -1
	v_dual_mov_b32 v39, 0 :: v_dual_mov_b32 v100, v1
	v_cndmask_b32_e64 v10, 0, 1, s16
	;;#ASMSTART
	;;#ASMEND
	s_delay_alu instid0(VALU_DEP_1)
	v_cmp_ne_u32_e32 vcc_lo, 0, v10
	v_mov_b32_e32 v101, v0
	v_mov_b32_e32 v10, v68
	s_mov_b32 s17, -1
	s_cbranch_vccnz .LBB4_739
; %bb.720:                              ;   in Loop: Header=BB4_107 Depth=1
	v_ashrrev_i32_e32 v10, 31, v1
	v_sub_nc_u32_e32 v39, v1, v55
	s_mov_b32 s30, exec_lo
	s_delay_alu instid0(VALU_DEP_2) | instskip(NEXT) | instid1(VALU_DEP_1)
	v_lshrrev_b32_e32 v10, 23, v10
	v_add_nc_u32_e32 v10, v1, v10
	s_delay_alu instid0(VALU_DEP_1) | instskip(SKIP_1) | instid1(VALU_DEP_2)
	v_and_b32_e32 v102, 0xfffffe00, v10
	v_ashrrev_i32_e32 v10, 9, v10
	v_sub_nc_u32_e32 v112, v1, v102
	s_delay_alu instid0(VALU_DEP_1) | instskip(NEXT) | instid1(VALU_DEP_1)
	v_cmp_lt_i32_e64 s16, 15, v112
	v_add_co_ci_u32_e64 v113, vcc_lo, v10, v71, s16
	v_cmpx_lt_i32_e32 15, v39
	s_cbranch_execz .LBB4_727
; %bb.721:                              ;   in Loop: Header=BB4_107 Depth=1
	s_cbranch_execnz .LBB4_1483
; %bb.722:                              ;   in Loop: Header=BB4_107 Depth=1
	ds_load_b64 v[48:49], v0
	ds_load_b128 v[10:13], v0
	s_mov_b32 s31, 0
	s_waitcnt lgkmcnt(1)
	v_add_co_u32 v48, vcc_lo, v48, v55
	v_add_co_ci_u32_e32 v49, vcc_lo, v49, v66, vcc_lo
	s_waitcnt lgkmcnt(0)
	v_add_co_u32 v100, vcc_lo, v10, v55
	v_add_co_ci_u32_e32 v101, vcc_lo, v11, v66, vcc_lo
	v_add_co_u32 v103, vcc_lo, v12, v55
	v_add_co_ci_u32_e32 v114, vcc_lo, v13, v66, vcc_lo
.LBB4_723:                              ;   Parent Loop BB4_107 Depth=1
                                        ; =>  This Loop Header: Depth=2
                                        ;       Child Loop BB4_724 Depth 3
	global_load_b128 v[10:13], v[48:49], off slc dlc
	s_mov_b64 s[18:19], 0
	s_mov_b32 s17, -1
.LBB4_724:                              ;   Parent Loop BB4_107 Depth=1
                                        ;     Parent Loop BB4_723 Depth=2
                                        ; =>    This Inner Loop Header: Depth=3
	s_cmp_eq_u32 s18, 0
	v_cndmask_b32_e64 v117, 0, 1, s17
	s_cselect_b32 vcc_lo, -1, 0
	s_cmp_eq_u32 s18, 1
	s_cselect_b32 s17, -1, 0
	s_delay_alu instid0(SALU_CYCLE_1) | instskip(SKIP_1) | instid1(VALU_DEP_2)
	v_cndmask_b32_e64 v115, v100, v103, s17
	v_cndmask_b32_e64 v116, v101, v114, s17
	v_add_co_u32 v118, s18, 0x200, v115
	s_delay_alu instid0(VALU_DEP_1) | instskip(SKIP_1) | instid1(VALU_DEP_3)
	v_add_co_ci_u32_e64 v119, s18, 0, v116, s18
	v_cmp_ne_u32_e64 s18, 1, v117
	v_cndmask_b32_e64 v103, v103, v118, s17
	v_cndmask_b32_e32 v100, v100, v118, vcc_lo
	s_delay_alu instid0(VALU_DEP_4)
	v_cndmask_b32_e64 v114, v114, v119, s17
	v_cndmask_b32_e32 v101, v101, v119, vcc_lo
	s_mov_b32 s17, 0
	s_and_b32 vcc_lo, exec_lo, s18
	s_mov_b64 s[18:19], 1
	s_waitcnt vmcnt(0)
	global_store_b128 v[115:116], v[10:13], off glc slc dlc
	s_cbranch_vccz .LBB4_724
; %bb.725:                              ;   in Loop: Header=BB4_723 Depth=2
	v_add_co_u32 v100, vcc_lo, v100, v67
	v_sub_nc_u32_e32 v39, v39, v65
	v_add_co_ci_u32_e32 v101, vcc_lo, v101, v70, vcc_lo
	v_add_co_u32 v103, vcc_lo, v103, v67
	v_add_co_ci_u32_e32 v114, vcc_lo, v114, v70, vcc_lo
	s_delay_alu instid0(VALU_DEP_4) | instskip(SKIP_1) | instid1(VALU_DEP_1)
	v_cmp_gt_i32_e32 vcc_lo, 16, v39
	v_add_co_u32 v48, s17, v80, v48
	v_add_co_ci_u32_e64 v49, s17, v81, v49, s17
	v_sub_nc_u32_e32 v113, v113, v54
	s_or_b32 s31, vcc_lo, s31
	s_delay_alu instid0(SALU_CYCLE_1)
	s_and_not1_b32 exec_lo, exec_lo, s31
	s_cbranch_execnz .LBB4_723
; %bb.726:                              ;   in Loop: Header=BB4_107 Depth=1
	s_or_b32 exec_lo, exec_lo, s31
.LBB4_727:                              ;   in Loop: Header=BB4_107 Depth=1
	s_delay_alu instid0(SALU_CYCLE_1) | instskip(SKIP_4) | instid1(VALU_DEP_2)
	s_or_b32 exec_lo, exec_lo, s30
	v_and_b32_e32 v11, 15, v1
	v_mov_b32_e32 v39, 0
	s_mov_b32 s17, 0
	s_mov_b32 s30, exec_lo
                                        ; implicit-def: $vgpr100
                                        ; implicit-def: $vgpr101
                                        ; implicit-def: $vgpr10
	v_cndmask_b32_e64 v103, v112, v11, s16
	s_delay_alu instid0(VALU_DEP_1)
	v_cmpx_ne_u32_e32 0, v103
	s_cbranch_execz .LBB4_738
; %bb.728:                              ;   in Loop: Header=BB4_107 Depth=1
	v_cmp_lt_i32_e32 vcc_lo, 0, v113
	v_ashrrev_i32_e32 v13, 31, v103
	v_sub_nc_u32_e32 v11, v112, v11
	s_mov_b32 s31, exec_lo
	v_cndmask_b32_e32 v10, 0, v54, vcc_lo
	s_delay_alu instid0(VALU_DEP_3) | instskip(NEXT) | instid1(VALU_DEP_3)
	v_lshrrev_b32_e32 v13, 23, v13
	v_cndmask_b32_e64 v11, 0, v11, s16
	s_delay_alu instid0(VALU_DEP_3) | instskip(NEXT) | instid1(VALU_DEP_3)
	v_sub_nc_u32_e32 v10, v10, v113
	v_add_nc_u32_e32 v13, v103, v13
	s_delay_alu instid0(VALU_DEP_3) | instskip(NEXT) | instid1(VALU_DEP_3)
	v_add_nc_u32_e32 v102, v11, v102
	v_lshl_add_u32 v10, v10, 5, v69
	s_delay_alu instid0(VALU_DEP_3) | instskip(SKIP_1) | instid1(VALU_DEP_3)
	v_and_b32_e32 v113, 0xfffffe00, v13
	v_ashrrev_i32_e32 v13, 9, v13
	v_ashrrev_i32_e32 v12, 31, v10
	s_delay_alu instid0(VALU_DEP_3) | instskip(NEXT) | instid1(VALU_DEP_2)
	v_sub_nc_u32_e32 v112, v103, v113
	v_lshrrev_b32_e32 v12, 27, v12
	s_delay_alu instid0(VALU_DEP_2) | instskip(NEXT) | instid1(VALU_DEP_2)
	v_cmp_lt_i32_e64 s16, 15, v112
	v_add_nc_u32_e32 v12, v10, v12
	s_delay_alu instid0(VALU_DEP_2) | instskip(NEXT) | instid1(VALU_DEP_2)
	v_add_co_ci_u32_e64 v13, vcc_lo, 0, v13, s16
	v_and_b32_e32 v39, 0xffffffe0, v12
	v_ashrrev_i32_e32 v12, 5, v12
	s_delay_alu instid0(VALU_DEP_2) | instskip(NEXT) | instid1(VALU_DEP_2)
	v_sub_nc_u32_e32 v114, v10, v39
	v_sub_nc_u32_e32 v115, v13, v12
	s_delay_alu instid0(VALU_DEP_2) | instskip(NEXT) | instid1(VALU_DEP_1)
	v_lshlrev_b32_e32 v10, 4, v114
	v_lshl_add_u32 v10, v12, 9, v10
	s_delay_alu instid0(VALU_DEP_1) | instskip(NEXT) | instid1(VALU_DEP_1)
	v_sub_nc_u32_e32 v39, v103, v10
	v_cmpx_lt_i32_e32 15, v39
	s_cbranch_execz .LBB4_735
; %bb.729:                              ;   in Loop: Header=BB4_107 Depth=1
	s_cbranch_execnz .LBB4_1535
; %bb.730:                              ;   in Loop: Header=BB4_107 Depth=1
	ds_load_b64 v[11:12], v0
	ds_load_b128 v[116:119], v0
	v_add_nc_u32_e32 v10, v10, v102
	s_mov_b32 s34, 0
	s_delay_alu instid0(VALU_DEP_1) | instskip(SKIP_2) | instid1(VALU_DEP_2)
	v_ashrrev_i32_e32 v13, 31, v10
	s_waitcnt lgkmcnt(1)
	v_add_co_u32 v48, vcc_lo, v11, v10
	v_add_co_ci_u32_e32 v49, vcc_lo, v12, v13, vcc_lo
	s_waitcnt lgkmcnt(0)
	v_add_co_u32 v100, vcc_lo, v116, v10
	v_add_co_ci_u32_e32 v101, vcc_lo, v117, v13, vcc_lo
	v_add_co_u32 v116, vcc_lo, v118, v10
	v_add_co_ci_u32_e32 v117, vcc_lo, v119, v13, vcc_lo
.LBB4_731:                              ;   Parent Loop BB4_107 Depth=1
                                        ; =>  This Loop Header: Depth=2
                                        ;       Child Loop BB4_732 Depth 3
	global_load_b128 v[10:13], v[48:49], off slc dlc
	s_mov_b64 s[18:19], 0
	s_mov_b32 s17, -1
.LBB4_732:                              ;   Parent Loop BB4_107 Depth=1
                                        ;     Parent Loop BB4_731 Depth=2
                                        ; =>    This Inner Loop Header: Depth=3
	s_cmp_eq_u32 s18, 0
	v_cndmask_b32_e64 v128, 0, 1, s17
	s_cselect_b32 vcc_lo, -1, 0
	s_cmp_eq_u32 s18, 1
	s_cselect_b32 s17, -1, 0
	s_delay_alu instid0(SALU_CYCLE_1) | instskip(SKIP_1) | instid1(VALU_DEP_2)
	v_cndmask_b32_e64 v118, v100, v116, s17
	v_cndmask_b32_e64 v119, v101, v117, s17
	v_add_co_u32 v129, s18, 0x200, v118
	s_delay_alu instid0(VALU_DEP_1) | instskip(SKIP_1) | instid1(VALU_DEP_3)
	v_add_co_ci_u32_e64 v130, s18, 0, v119, s18
	v_cmp_ne_u32_e64 s18, 1, v128
	v_cndmask_b32_e64 v116, v116, v129, s17
	v_cndmask_b32_e32 v100, v100, v129, vcc_lo
	s_delay_alu instid0(VALU_DEP_4)
	v_cndmask_b32_e64 v117, v117, v130, s17
	v_cndmask_b32_e32 v101, v101, v130, vcc_lo
	s_mov_b32 s17, 0
	s_and_b32 vcc_lo, exec_lo, s18
	s_mov_b64 s[18:19], 1
	s_waitcnt vmcnt(0)
	global_store_b128 v[118:119], v[10:13], off glc slc dlc
	s_cbranch_vccz .LBB4_732
; %bb.733:                              ;   in Loop: Header=BB4_731 Depth=2
	v_add_co_u32 v100, vcc_lo, v100, v67
	v_sub_nc_u32_e32 v39, v39, v65
	v_add_co_ci_u32_e32 v101, vcc_lo, v101, v70, vcc_lo
	v_add_co_u32 v116, vcc_lo, v116, v67
	v_add_co_ci_u32_e32 v117, vcc_lo, v117, v70, vcc_lo
	s_delay_alu instid0(VALU_DEP_4) | instskip(SKIP_1) | instid1(VALU_DEP_1)
	v_cmp_gt_i32_e32 vcc_lo, 16, v39
	v_add_co_u32 v48, s17, v80, v48
	v_add_co_ci_u32_e64 v49, s17, v81, v49, s17
	v_sub_nc_u32_e32 v115, v115, v54
	s_or_b32 s34, vcc_lo, s34
	s_delay_alu instid0(SALU_CYCLE_1)
	s_and_not1_b32 exec_lo, exec_lo, s34
	s_cbranch_execnz .LBB4_731
; %bb.734:                              ;   in Loop: Header=BB4_107 Depth=1
	s_or_b32 exec_lo, exec_lo, s34
.LBB4_735:                              ;   in Loop: Header=BB4_107 Depth=1
	s_delay_alu instid0(SALU_CYCLE_1) | instskip(SKIP_4) | instid1(VALU_DEP_2)
	s_or_b32 exec_lo, exec_lo, s31
	v_and_b32_e32 v11, 15, v103
	v_mov_b32_e32 v39, 0
	s_mov_b32 s17, 0
	s_mov_b32 s18, exec_lo
                                        ; implicit-def: $vgpr101
                                        ; implicit-def: $vgpr10
	v_cndmask_b32_e64 v100, v112, v11, s16
	s_delay_alu instid0(VALU_DEP_1)
	v_cmpx_ne_u32_e32 0, v100
	s_cbranch_execz .LBB4_737
; %bb.736:                              ;   in Loop: Header=BB4_107 Depth=1
	v_cmp_lt_i32_e32 vcc_lo, 0, v115
	v_sub_nc_u32_e32 v11, v112, v11
	s_mov_b32 s17, exec_lo
	v_cndmask_b32_e32 v10, 0, v54, vcc_lo
	s_delay_alu instid0(VALU_DEP_2) | instskip(NEXT) | instid1(VALU_DEP_2)
	v_cndmask_b32_e64 v11, 0, v11, s16
	v_sub_nc_u32_e32 v10, v10, v115
	s_delay_alu instid0(VALU_DEP_2) | instskip(NEXT) | instid1(VALU_DEP_2)
	v_add3_u32 v39, v113, v102, v11
	v_lshl_add_u32 v101, v10, 5, v114
	s_delay_alu instid0(VALU_DEP_1) | instskip(NEXT) | instid1(VALU_DEP_1)
	v_ashrrev_i32_e32 v10, 31, v101
	v_lshrrev_b32_e32 v10, 27, v10
	s_delay_alu instid0(VALU_DEP_1) | instskip(NEXT) | instid1(VALU_DEP_1)
	v_add_nc_u32_e32 v10, v101, v10
	v_ashrrev_i32_e32 v10, 5, v10
.LBB4_737:                              ;   in Loop: Header=BB4_107 Depth=1
	s_or_b32 exec_lo, exec_lo, s18
	s_delay_alu instid0(SALU_CYCLE_1)
	s_and_b32 s17, s17, exec_lo
.LBB4_738:                              ;   in Loop: Header=BB4_107 Depth=1
	s_or_b32 exec_lo, exec_lo, s30
.LBB4_739:                              ;   in Loop: Header=BB4_107 Depth=1
	s_and_saveexec_b32 s30, s17
	s_cbranch_execz .LBB4_752
; %bb.740:                              ;   in Loop: Header=BB4_107 Depth=1
	v_ashrrev_i32_e32 v11, 31, v100
	s_mov_b32 s17, exec_lo
	s_delay_alu instid0(VALU_DEP_1) | instskip(NEXT) | instid1(VALU_DEP_1)
	v_lshrrev_b32_e32 v11, 24, v11
	v_add_nc_u32_e32 v11, v100, v11
	s_delay_alu instid0(VALU_DEP_1) | instskip(NEXT) | instid1(VALU_DEP_1)
	v_ashrrev_i32_e32 v103, 8, v11
	v_sub_nc_u32_e32 v102, v103, v10
	s_delay_alu instid0(VALU_DEP_1)
	v_cmpx_lt_i32_e32 0, v102
	s_cbranch_execz .LBB4_745
; %bb.741:                              ;   in Loop: Header=BB4_107 Depth=1
	s_cbranch_execnz .LBB4_1473
; %bb.742:                              ;   in Loop: Header=BB4_107 Depth=1
	v_ashrrev_i32_e32 v11, 31, v101
	v_lshlrev_b32_e32 v10, 8, v10
	s_mov_b32 s18, 0
	ds_load_b128 v[112:115], v0
	v_lshrrev_b32_e32 v11, 27, v11
	s_delay_alu instid0(VALU_DEP_1) | instskip(SKIP_2) | instid1(VALU_DEP_1)
	v_add_nc_u32_e32 v13, v101, v11
	ds_load_b64 v[11:12], v0
	v_and_b32_e32 v13, 0xffffffe0, v13
	v_sub_nc_u32_e32 v13, v101, v13
	s_delay_alu instid0(VALU_DEP_1) | instskip(NEXT) | instid1(VALU_DEP_1)
	v_add3_u32 v48, v39, v13, v10
	v_ashrrev_i32_e32 v49, 31, v48
	s_waitcnt lgkmcnt(0)
	v_add_co_u32 v116, vcc_lo, 0xe0, v11
	v_add_co_ci_u32_e32 v117, vcc_lo, 0, v12, vcc_lo
	v_add_co_u32 v10, vcc_lo, v112, v48
	v_add_co_ci_u32_e32 v11, vcc_lo, v113, v49, vcc_lo
	;; [unrolled: 2-line block ×4, first 2 shown]
.LBB4_743:                              ;   Parent Loop BB4_107 Depth=1
                                        ; =>  This Inner Loop Header: Depth=2
	s_delay_alu instid0(VALU_DEP_2) | instskip(NEXT) | instid1(VALU_DEP_2)
	v_add_co_u32 v112, vcc_lo, 0xffffff20, v48
	v_add_co_ci_u32_e32 v113, vcc_lo, -1, v49, vcc_lo
	v_add_co_u32 v114, vcc_lo, 0xffffff40, v48
	v_add_co_ci_u32_e32 v115, vcc_lo, -1, v49, vcc_lo
	v_add_co_u32 v116, vcc_lo, 0xffffff60, v48
	v_add_co_ci_u32_e32 v117, vcc_lo, -1, v49, vcc_lo
	v_add_co_u32 v118, vcc_lo, 0xffffff80, v48
	v_add_co_ci_u32_e32 v119, vcc_lo, -1, v49, vcc_lo
	v_add_co_u32 v128, vcc_lo, 0xffffffa0, v48
	v_add_co_ci_u32_e32 v129, vcc_lo, -1, v49, vcc_lo
	v_add_co_u32 v130, vcc_lo, 0xffffffc0, v48
	v_add_co_ci_u32_e32 v131, vcc_lo, -1, v49, vcc_lo
	v_add_co_u32 v132, vcc_lo, 0xffffffe0, v48
	v_add_co_ci_u32_e32 v133, vcc_lo, -1, v49, vcc_lo
	flat_load_u8 v134, v[48:49] slc dlc
	flat_load_u8 v112, v[112:113] slc dlc
	flat_load_u8 v113, v[114:115] slc dlc
	flat_load_u8 v114, v[116:117] slc dlc
	flat_load_u8 v115, v[118:119] slc dlc
	flat_load_u8 v116, v[128:129] slc dlc
	flat_load_u8 v117, v[130:131] slc dlc
	flat_load_u8 v118, v[132:133] slc dlc
	v_sub_nc_u32_e32 v102, v102, v54
	v_add_co_u32 v48, vcc_lo, v48, v83
	v_add_co_ci_u32_e32 v49, vcc_lo, v49, v84, vcc_lo
	s_delay_alu instid0(VALU_DEP_3)
	v_cmp_gt_i32_e32 vcc_lo, 1, v102
	s_waitcnt vmcnt(6) lgkmcnt(6)
	flat_store_b8 v[10:11], v112 glc slc dlc
	s_waitcnt vmcnt(5) lgkmcnt(6)
	flat_store_b8 v[10:11], v113 offset:32 glc slc dlc
	s_waitcnt vmcnt(4) lgkmcnt(6)
	flat_store_b8 v[10:11], v114 offset:64 glc slc dlc
	;; [unrolled: 2-line block ×5, first 2 shown]
	s_waitcnt vmcnt(0) lgkmcnt(6)
	s_clause 0x1
	flat_store_b8 v[10:11], v118 offset:192 glc slc dlc
	flat_store_b8 v[10:11], v134 offset:224 glc slc dlc
	s_clause 0x7
	flat_store_b8 v[12:13], v112 glc slc dlc
	flat_store_b8 v[12:13], v113 offset:32 glc slc dlc
	flat_store_b8 v[12:13], v114 offset:64 glc slc dlc
	;; [unrolled: 1-line block ×7, first 2 shown]
	v_add_co_u32 v10, s16, v10, v83
	s_delay_alu instid0(VALU_DEP_1) | instskip(SKIP_1) | instid1(VALU_DEP_1)
	v_add_co_ci_u32_e64 v11, s16, v11, v84, s16
	v_add_co_u32 v12, s16, v12, v83
	v_add_co_ci_u32_e64 v13, s16, v13, v84, s16
	s_or_b32 s18, vcc_lo, s18
	s_delay_alu instid0(SALU_CYCLE_1)
	s_and_not1_b32 exec_lo, exec_lo, s18
	s_cbranch_execnz .LBB4_743
; %bb.744:                              ;   in Loop: Header=BB4_107 Depth=1
	s_or_b32 exec_lo, exec_lo, s18
.LBB4_745:                              ;   in Loop: Header=BB4_107 Depth=1
	s_delay_alu instid0(SALU_CYCLE_1) | instskip(SKIP_1) | instid1(VALU_DEP_1)
	s_or_b32 exec_lo, exec_lo, s17
	v_lshlrev_b32_e32 v10, 8, v103
	v_cmp_ne_u32_e32 vcc_lo, v100, v10
	s_and_b32 exec_lo, exec_lo, vcc_lo
	s_cbranch_execz .LBB4_752
; %bb.746:                              ;   in Loop: Header=BB4_107 Depth=1
	v_ashrrev_i32_e32 v11, 31, v101
	v_lshlrev_b32_e32 v12, 5, v102
	s_delay_alu instid0(VALU_DEP_2) | instskip(NEXT) | instid1(VALU_DEP_1)
	v_lshrrev_b32_e32 v11, 27, v11
	v_add_nc_u32_e32 v11, v101, v11
	s_delay_alu instid0(VALU_DEP_1) | instskip(NEXT) | instid1(VALU_DEP_1)
	v_and_b32_e32 v11, 0xffffffe0, v11
	v_sub_nc_u32_e32 v11, v101, v11
	s_delay_alu instid0(VALU_DEP_1) | instskip(NEXT) | instid1(VALU_DEP_1)
	v_sub_nc_u32_e32 v11, v11, v12
	v_add_nc_u32_e32 v10, v10, v11
	s_delay_alu instid0(VALU_DEP_1) | instskip(NEXT) | instid1(VALU_DEP_1)
	v_sub_nc_u32_e32 v12, v100, v10
	v_cmp_lt_i32_e32 vcc_lo, 0, v12
	s_and_b32 exec_lo, exec_lo, vcc_lo
	s_cbranch_execz .LBB4_752
; %bb.747:                              ;   in Loop: Header=BB4_107 Depth=1
	s_cbranch_execnz .LBB4_1523
; %bb.748:                              ;   in Loop: Header=BB4_107 Depth=1
	ds_load_b64 v[48:49], v0
	ds_load_b128 v[100:103], v0
	v_add_nc_u32_e32 v112, v10, v39
	s_mov_b32 s31, 0
	s_delay_alu instid0(VALU_DEP_1) | instskip(SKIP_2) | instid1(VALU_DEP_2)
	v_ashrrev_i32_e32 v113, 31, v112
	s_waitcnt lgkmcnt(1)
	v_add_co_u32 v10, vcc_lo, v48, v112
	v_add_co_ci_u32_e32 v11, vcc_lo, v49, v113, vcc_lo
	s_waitcnt lgkmcnt(0)
	v_add_co_u32 v13, vcc_lo, v100, v112
	v_add_co_ci_u32_e32 v39, vcc_lo, v101, v113, vcc_lo
	v_add_co_u32 v48, vcc_lo, v102, v112
	v_add_co_ci_u32_e32 v49, vcc_lo, v103, v113, vcc_lo
	s_set_inst_prefetch_distance 0x1
.LBB4_749:                              ;   Parent Loop BB4_107 Depth=1
                                        ; =>  This Loop Header: Depth=2
                                        ;       Child Loop BB4_750 Depth 3
	flat_load_u8 v100, v[10:11] slc dlc
	s_mov_b64 s[18:19], 0
	s_mov_b32 s34, -1
.LBB4_750:                              ;   Parent Loop BB4_107 Depth=1
                                        ;     Parent Loop BB4_749 Depth=2
                                        ; =>    This Inner Loop Header: Depth=3
	s_cmp_eq_u32 s18, 1
	s_cselect_b32 vcc_lo, -1, 0
	s_cmp_eq_u32 s18, 0
	v_dual_cndmask_b32 v102, v39, v49 :: v_dual_cndmask_b32 v101, v13, v48
	s_mov_b64 s[18:19], 1
	s_delay_alu instid0(VALU_DEP_1) | instskip(NEXT) | instid1(VALU_DEP_1)
	v_add_co_u32 v103, s16, v101, 32
	v_add_co_ci_u32_e64 v112, s16, 0, v102, s16
	s_cselect_b32 s16, -1, 0
	s_and_b32 s17, exec_lo, s34
	s_delay_alu instid0(VALU_DEP_1)
	v_dual_cndmask_b32 v48, v48, v103 :: v_dual_cndmask_b32 v49, v49, v112
	v_cndmask_b32_e64 v39, v39, v112, s16
	v_cndmask_b32_e64 v13, v13, v103, s16
	s_mov_b32 s34, 0
	s_mov_b32 vcc_lo, s17
	s_waitcnt vmcnt(0) lgkmcnt(0)
	flat_store_b8 v[101:102], v100 glc slc dlc
	s_cbranch_vccnz .LBB4_750
; %bb.751:                              ;   in Loop: Header=BB4_749 Depth=2
	v_add_co_u32 v13, vcc_lo, v13, v82
	v_sub_nc_u32_e32 v12, v12, v64
	v_add_co_ci_u32_e32 v39, vcc_lo, v39, v85, vcc_lo
	v_add_co_u32 v48, vcc_lo, v48, v82
	v_add_co_ci_u32_e32 v49, vcc_lo, v49, v85, vcc_lo
	s_delay_alu instid0(VALU_DEP_4) | instskip(SKIP_1) | instid1(VALU_DEP_1)
	v_cmp_gt_i32_e32 vcc_lo, 1, v12
	v_add_co_u32 v10, s16, v86, v10
	v_add_co_ci_u32_e64 v11, s16, v87, v11, s16
	s_or_b32 s31, vcc_lo, s31
	s_delay_alu instid0(SALU_CYCLE_1)
	s_and_not1_b32 exec_lo, exec_lo, s31
	s_cbranch_execnz .LBB4_749
.LBB4_752:                              ;   in Loop: Header=BB4_107 Depth=1
	s_set_inst_prefetch_distance 0x2
	s_or_b32 exec_lo, exec_lo, s30
	s_mov_b32 s16, 0
	s_branch .LBB4_754
.LBB4_753:                              ;   in Loop: Header=BB4_107 Depth=1
	s_mov_b32 s16, -1
.LBB4_754:                              ;   in Loop: Header=BB4_107 Depth=1
	s_delay_alu instid0(SALU_CYCLE_1)
	s_and_b32 vcc_lo, exec_lo, s16
	s_cbranch_vccz .LBB4_787
; %bb.755:                              ;   in Loop: Header=BB4_107 Depth=1
	s_mov_b32 s16, -1
	s_and_saveexec_b32 s17, s10
	s_cbranch_execz .LBB4_757
; %bb.756:                              ;   in Loop: Header=BB4_107 Depth=1
	ds_load_b32 v10, v0 offset:720
	s_waitcnt lgkmcnt(0)
	v_and_b32_e32 v10, 15, v10
	s_delay_alu instid0(VALU_DEP_1)
	v_cmp_eq_u32_e32 vcc_lo, 0, v10
	s_or_not1_b32 s16, vcc_lo, exec_lo
.LBB4_757:                              ;   in Loop: Header=BB4_107 Depth=1
	s_or_b32 exec_lo, exec_lo, s17
	s_and_saveexec_b32 s17, s10
	s_cbranch_execz .LBB4_759
; %bb.758:                              ;   in Loop: Header=BB4_107 Depth=1
	ds_load_b32 v10, v0 offset:784
	s_waitcnt lgkmcnt(0)
	v_and_b32_e32 v10, 15, v10
	s_delay_alu instid0(VALU_DEP_1) | instskip(SKIP_3) | instid1(SALU_CYCLE_1)
	v_cmp_eq_u32_e32 vcc_lo, 0, v10
	s_and_b32 s18, s16, vcc_lo
	s_and_not1_b32 s16, s16, exec_lo
	s_and_b32 s18, s18, exec_lo
	s_or_b32 s16, s16, s18
.LBB4_759:                              ;   in Loop: Header=BB4_107 Depth=1
	s_or_b32 exec_lo, exec_lo, s17
	s_xor_b32 s16, s16, -1
	v_dual_mov_b32 v48, 0 :: v_dual_mov_b32 v39, v1
	v_cndmask_b32_e64 v10, 0, 1, s16
	;;#ASMSTART
	;;#ASMEND
	s_delay_alu instid0(VALU_DEP_1)
	v_cmp_ne_u32_e32 vcc_lo, 0, v10
	v_mov_b32_e32 v49, v0
	v_mov_b32_e32 v102, v68
	s_mov_b32 s16, -1
	s_cbranch_vccnz .LBB4_775
; %bb.760:                              ;   in Loop: Header=BB4_107 Depth=1
	v_ashrrev_i32_e32 v10, 31, v1
	s_mov_b32 s17, exec_lo
	s_delay_alu instid0(VALU_DEP_1) | instskip(NEXT) | instid1(VALU_DEP_1)
	v_lshrrev_b32_e32 v10, 22, v10
	v_add_nc_u32_e32 v10, v1, v10
	s_delay_alu instid0(VALU_DEP_1) | instskip(NEXT) | instid1(VALU_DEP_1)
	v_ashrrev_i32_e32 v39, 10, v10
	v_sub_nc_u32_e32 v100, v39, v68
	s_delay_alu instid0(VALU_DEP_1)
	v_cmpx_lt_i32_e32 0, v100
	s_cbranch_execz .LBB4_765
; %bb.761:                              ;   in Loop: Header=BB4_107 Depth=1
	s_cbranch_execnz .LBB4_1497
; %bb.762:                              ;   in Loop: Header=BB4_107 Depth=1
	ds_load_b64 v[10:11], v0
	v_dual_mov_b32 v12, v34 :: v_dual_mov_b32 v13, v35
	s_mov_b32 s18, 0
.LBB4_763:                              ;   Parent Loop BB4_107 Depth=1
                                        ; =>  This Inner Loop Header: Depth=2
	s_waitcnt lgkmcnt(0)
	s_delay_alu instid0(VALU_DEP_1) | instskip(NEXT) | instid1(VALU_DEP_2)
	v_add_co_u32 v48, vcc_lo, v10, v12
	v_add_co_ci_u32_e32 v49, vcc_lo, v11, v13, vcc_lo
	v_sub_nc_u32_e32 v100, v100, v54
	v_add_co_u32 v12, s16, v12, v96
	s_clause 0x1
	global_load_b128 v[112:115], v[48:49], off slc dlc
	global_load_b128 v[116:119], v[48:49], off offset:512 slc dlc
	v_add_co_ci_u32_e64 v13, s16, v13, v97, s16
	v_cmp_gt_i32_e32 vcc_lo, 1, v100
	s_waitcnt vmcnt(1)
	global_store_b128 v[48:49], v[112:115], off glc slc dlc
	s_waitcnt vmcnt(0)
	global_store_b128 v[48:49], v[116:119], off offset:512 glc slc dlc
	s_or_b32 s18, vcc_lo, s18
	s_delay_alu instid0(SALU_CYCLE_1)
	s_and_not1_b32 exec_lo, exec_lo, s18
	s_cbranch_execnz .LBB4_763
; %bb.764:                              ;   in Loop: Header=BB4_107 Depth=1
	s_or_b32 exec_lo, exec_lo, s18
.LBB4_765:                              ;   in Loop: Header=BB4_107 Depth=1
	s_delay_alu instid0(SALU_CYCLE_1) | instskip(SKIP_4) | instid1(VALU_DEP_2)
	s_or_b32 exec_lo, exec_lo, s17
	v_lshlrev_b32_e32 v12, 10, v39
	v_mov_b32_e32 v48, 0
	s_mov_b32 s16, 0
	s_mov_b32 s18, exec_lo
                                        ; implicit-def: $vgpr39
                                        ; implicit-def: $vgpr49
                                        ; implicit-def: $vgpr102
	v_cmpx_ne_u32_e64 v1, v12
	s_cbranch_execz .LBB4_774
; %bb.766:                              ;   in Loop: Header=BB4_107 Depth=1
	v_lshlrev_b32_e32 v10, 5, v100
	v_sub_nc_u32_e32 v39, v1, v12
	s_mov_b32 s19, exec_lo
	s_delay_alu instid0(VALU_DEP_2) | instskip(NEXT) | instid1(VALU_DEP_2)
	v_sub_nc_u32_e32 v10, v69, v10
	v_ashrrev_i32_e32 v13, 31, v39
	s_delay_alu instid0(VALU_DEP_2) | instskip(NEXT) | instid1(VALU_DEP_2)
	v_ashrrev_i32_e32 v11, 31, v10
	v_lshrrev_b32_e32 v13, 23, v13
	s_delay_alu instid0(VALU_DEP_2) | instskip(NEXT) | instid1(VALU_DEP_2)
	v_lshrrev_b32_e32 v11, 27, v11
	v_add_nc_u32_e32 v49, v39, v13
	s_delay_alu instid0(VALU_DEP_2) | instskip(NEXT) | instid1(VALU_DEP_2)
	v_add_nc_u32_e32 v11, v10, v11
	v_and_b32_e32 v13, 0xfffffe00, v49
	v_ashrrev_i32_e32 v49, 9, v49
	s_delay_alu instid0(VALU_DEP_3) | instskip(NEXT) | instid1(VALU_DEP_3)
	v_and_b32_e32 v48, 0xffffffe0, v11
	v_sub_nc_u32_e32 v101, v39, v13
	s_delay_alu instid0(VALU_DEP_2) | instskip(SKIP_1) | instid1(VALU_DEP_3)
	v_sub_nc_u32_e32 v100, v10, v48
	v_ashrrev_i32_e32 v10, 5, v11
	v_cmp_lt_i32_e32 vcc_lo, 15, v101
	s_delay_alu instid0(VALU_DEP_3) | instskip(NEXT) | instid1(VALU_DEP_1)
	v_lshlrev_b32_e32 v11, 4, v100
	v_lshl_add_u32 v48, v10, 9, v11
	v_add_co_ci_u32_e64 v11, s16, 0, v49, vcc_lo
	s_delay_alu instid0(VALU_DEP_2) | instskip(NEXT) | instid1(VALU_DEP_2)
	v_sub_nc_u32_e32 v39, v39, v48
	v_sub_nc_u32_e32 v103, v11, v10
	s_delay_alu instid0(VALU_DEP_2)
	v_cmpx_lt_i32_e32 15, v39
	s_cbranch_execz .LBB4_771
; %bb.767:                              ;   in Loop: Header=BB4_107 Depth=1
	s_cbranch_execnz .LBB4_1545
; %bb.768:                              ;   in Loop: Header=BB4_107 Depth=1
	ds_load_b64 v[10:11], v0
	v_add_nc_u32_e32 v48, v48, v12
	s_mov_b32 s30, 0
	s_delay_alu instid0(VALU_DEP_1)
	v_ashrrev_i32_e32 v49, 31, v48
.LBB4_769:                              ;   Parent Loop BB4_107 Depth=1
                                        ; =>  This Inner Loop Header: Depth=2
	s_waitcnt lgkmcnt(0)
	v_add_co_u32 v116, s16, v10, v48
	s_delay_alu instid0(VALU_DEP_1)
	v_add_co_ci_u32_e64 v117, s16, v11, v49, s16
	v_sub_nc_u32_e32 v39, v39, v65
	v_add_co_u32 v48, s17, v48, v80
	global_load_b128 v[112:115], v[116:117], off slc dlc
	v_sub_nc_u32_e32 v103, v103, v54
	v_cmp_gt_i32_e64 s16, 16, v39
	v_add_co_ci_u32_e64 v49, s17, v49, v81, s17
	s_delay_alu instid0(VALU_DEP_2)
	s_or_b32 s30, s16, s30
	s_waitcnt vmcnt(0)
	global_store_b128 v[116:117], v[112:115], off glc slc dlc
	s_and_not1_b32 exec_lo, exec_lo, s30
	s_cbranch_execnz .LBB4_769
; %bb.770:                              ;   in Loop: Header=BB4_107 Depth=1
	s_or_b32 exec_lo, exec_lo, s30
.LBB4_771:                              ;   in Loop: Header=BB4_107 Depth=1
	s_delay_alu instid0(SALU_CYCLE_1) | instskip(SKIP_3) | instid1(VALU_DEP_1)
	s_or_b32 exec_lo, exec_lo, s19
	v_and_b32_e32 v10, 15, v1
	s_mov_b32 s17, 0
	s_mov_b32 s19, exec_lo
                                        ; implicit-def: $vgpr49
                                        ; implicit-def: $vgpr102
	v_dual_mov_b32 v48, 0 :: v_dual_cndmask_b32 v39, v101, v10
	s_delay_alu instid0(VALU_DEP_1)
	v_cmpx_ne_u32_e32 0, v39
; %bb.772:                              ;   in Loop: Header=BB4_107 Depth=1
	v_cmp_lt_i32_e64 s16, 0, v103
	v_sub_nc_u32_e32 v10, v101, v10
	s_mov_b32 s17, exec_lo
	s_delay_alu instid0(VALU_DEP_2) | instskip(NEXT) | instid1(VALU_DEP_1)
	v_cndmask_b32_e64 v11, 0, v54, s16
	v_sub_nc_u32_e32 v11, v11, v103
	s_delay_alu instid0(VALU_DEP_1) | instskip(NEXT) | instid1(VALU_DEP_1)
	v_lshl_add_u32 v49, v11, 5, v100
	v_ashrrev_i32_e32 v11, 31, v49
	s_delay_alu instid0(VALU_DEP_1) | instskip(NEXT) | instid1(VALU_DEP_1)
	v_lshrrev_b32_e32 v11, 27, v11
	v_dual_cndmask_b32 v10, 0, v10 :: v_dual_add_nc_u32 v11, v49, v11
	s_delay_alu instid0(VALU_DEP_1) | instskip(NEXT) | instid1(VALU_DEP_2)
	v_add3_u32 v48, v13, v12, v10
	v_ashrrev_i32_e32 v102, 5, v11
; %bb.773:                              ;   in Loop: Header=BB4_107 Depth=1
	s_or_b32 exec_lo, exec_lo, s19
	s_delay_alu instid0(SALU_CYCLE_1)
	s_and_b32 s16, s17, exec_lo
.LBB4_774:                              ;   in Loop: Header=BB4_107 Depth=1
	s_or_b32 exec_lo, exec_lo, s18
.LBB4_775:                              ;   in Loop: Header=BB4_107 Depth=1
	s_and_saveexec_b32 s17, s16
	s_cbranch_execz .LBB4_786
; %bb.776:                              ;   in Loop: Header=BB4_107 Depth=1
	v_ashrrev_i32_e32 v10, 31, v39
	s_mov_b32 s16, exec_lo
	s_delay_alu instid0(VALU_DEP_1) | instskip(NEXT) | instid1(VALU_DEP_1)
	v_lshrrev_b32_e32 v10, 24, v10
	v_add_nc_u32_e32 v10, v39, v10
	s_delay_alu instid0(VALU_DEP_1) | instskip(NEXT) | instid1(VALU_DEP_1)
	v_ashrrev_i32_e32 v101, 8, v10
	v_sub_nc_u32_e32 v100, v101, v102
	s_delay_alu instid0(VALU_DEP_1)
	v_cmpx_lt_i32_e32 0, v100
	s_cbranch_execz .LBB4_781
; %bb.777:                              ;   in Loop: Header=BB4_107 Depth=1
	s_cbranch_execnz .LBB4_1491
; %bb.778:                              ;   in Loop: Header=BB4_107 Depth=1
	v_ashrrev_i32_e32 v10, 31, v49
	s_mov_b32 s18, 0
	s_delay_alu instid0(VALU_DEP_1) | instskip(NEXT) | instid1(VALU_DEP_1)
	v_lshrrev_b32_e32 v10, 27, v10
	v_add_nc_u32_e32 v12, v49, v10
	ds_load_b64 v[10:11], v0
	v_lshlrev_b32_e32 v13, 8, v102
	v_and_b32_e32 v12, 0xffffffe0, v12
	s_delay_alu instid0(VALU_DEP_1) | instskip(NEXT) | instid1(VALU_DEP_1)
	v_sub_nc_u32_e32 v12, v49, v12
	v_add3_u32 v102, v48, v12, v13
	s_delay_alu instid0(VALU_DEP_1)
	v_ashrrev_i32_e32 v103, 31, v102
	s_waitcnt lgkmcnt(0)
	v_dual_mov_b32 v13, v11 :: v_dual_mov_b32 v12, v10
.LBB4_779:                              ;   Parent Loop BB4_107 Depth=1
                                        ; =>  This Inner Loop Header: Depth=2
	s_delay_alu instid0(VALU_DEP_1) | instskip(NEXT) | instid1(VALU_DEP_2)
	v_add_co_u32 v112, vcc_lo, v102, v12
	v_add_co_ci_u32_e32 v113, vcc_lo, v103, v13, vcc_lo
	v_sub_nc_u32_e32 v100, v100, v54
	s_clause 0x7
	flat_load_u8 v114, v[112:113] slc dlc
	flat_load_u8 v115, v[112:113] offset:32 slc dlc
	flat_load_u8 v116, v[112:113] offset:64 slc dlc
	;; [unrolled: 1-line block ×7, first 2 shown]
	v_add_co_u32 v112, vcc_lo, v102, v10
	v_add_co_ci_u32_e32 v113, vcc_lo, v103, v11, vcc_lo
	v_add_co_u32 v12, vcc_lo, v12, v83
	v_add_co_ci_u32_e32 v13, vcc_lo, v13, v84, vcc_lo
	;; [unrolled: 2-line block ×3, first 2 shown]
	v_cmp_gt_i32_e32 vcc_lo, 1, v100
	s_waitcnt vmcnt(7) lgkmcnt(7)
	flat_store_b8 v[112:113], v114 glc slc dlc
	s_waitcnt vmcnt(6) lgkmcnt(7)
	flat_store_b8 v[112:113], v115 offset:32 glc slc dlc
	s_waitcnt vmcnt(5) lgkmcnt(7)
	flat_store_b8 v[112:113], v116 offset:64 glc slc dlc
	;; [unrolled: 2-line block ×7, first 2 shown]
	s_or_b32 s18, vcc_lo, s18
	s_delay_alu instid0(SALU_CYCLE_1)
	s_and_not1_b32 exec_lo, exec_lo, s18
	s_cbranch_execnz .LBB4_779
; %bb.780:                              ;   in Loop: Header=BB4_107 Depth=1
	s_or_b32 exec_lo, exec_lo, s18
.LBB4_781:                              ;   in Loop: Header=BB4_107 Depth=1
	s_delay_alu instid0(SALU_CYCLE_1) | instskip(SKIP_1) | instid1(VALU_DEP_1)
	s_or_b32 exec_lo, exec_lo, s16
	v_lshlrev_b32_e32 v10, 8, v101
	v_cmp_ne_u32_e32 vcc_lo, v39, v10
	s_and_b32 exec_lo, exec_lo, vcc_lo
	s_cbranch_execz .LBB4_786
; %bb.782:                              ;   in Loop: Header=BB4_107 Depth=1
	v_ashrrev_i32_e32 v11, 31, v49
	v_lshlrev_b32_e32 v12, 5, v100
	s_delay_alu instid0(VALU_DEP_2) | instskip(NEXT) | instid1(VALU_DEP_1)
	v_lshrrev_b32_e32 v11, 27, v11
	v_add_nc_u32_e32 v11, v49, v11
	s_delay_alu instid0(VALU_DEP_1) | instskip(NEXT) | instid1(VALU_DEP_1)
	v_and_b32_e32 v11, 0xffffffe0, v11
	v_sub_nc_u32_e32 v11, v49, v11
	s_delay_alu instid0(VALU_DEP_1) | instskip(NEXT) | instid1(VALU_DEP_1)
	v_sub_nc_u32_e32 v11, v11, v12
	v_add_nc_u32_e32 v13, v10, v11
	s_delay_alu instid0(VALU_DEP_1) | instskip(NEXT) | instid1(VALU_DEP_1)
	v_sub_nc_u32_e32 v12, v39, v13
	v_cmp_lt_i32_e32 vcc_lo, 0, v12
	s_and_b32 exec_lo, exec_lo, vcc_lo
	s_cbranch_execz .LBB4_786
; %bb.783:                              ;   in Loop: Header=BB4_107 Depth=1
	s_cbranch_execnz .LBB4_1541
; %bb.784:                              ;   in Loop: Header=BB4_107 Depth=1
	ds_load_b64 v[10:11], v0
	v_add_nc_u32_e32 v13, v13, v48
	s_mov_b32 s18, 0
	s_delay_alu instid0(VALU_DEP_1)
	v_ashrrev_i32_e32 v39, 31, v13
.LBB4_785:                              ;   Parent Loop BB4_107 Depth=1
                                        ; =>  This Inner Loop Header: Depth=2
	s_waitcnt lgkmcnt(0)
	v_add_co_u32 v48, vcc_lo, v10, v13
	s_delay_alu instid0(VALU_DEP_2)
	v_add_co_ci_u32_e32 v49, vcc_lo, v11, v39, vcc_lo
	v_sub_nc_u32_e32 v12, v12, v64
	v_add_co_u32 v13, s16, v13, v86
	flat_load_u8 v100, v[48:49] slc dlc
	v_add_co_ci_u32_e64 v39, s16, v39, v87, s16
	v_cmp_gt_i32_e32 vcc_lo, 1, v12
	s_or_b32 s18, vcc_lo, s18
	s_waitcnt vmcnt(0) lgkmcnt(0)
	flat_store_b8 v[48:49], v100 glc slc dlc
	s_and_not1_b32 exec_lo, exec_lo, s18
	s_cbranch_execnz .LBB4_785
.LBB4_786:                              ;   in Loop: Header=BB4_107 Depth=1
	s_or_b32 exec_lo, exec_lo, s17
.LBB4_787:                              ;   in Loop: Header=BB4_107 Depth=1
	v_cmp_lt_i32_e64 s16, 0, v1
.LBB4_788:                              ;   in Loop: Header=BB4_107 Depth=1
	s_and_saveexec_b32 s17, s3
	s_cbranch_execz .LBB4_810
; %bb.789:                              ;   in Loop: Header=BB4_107 Depth=1
	s_and_saveexec_b32 s18, s4
	s_delay_alu instid0(SALU_CYCLE_1)
	s_xor_b32 s18, exec_lo, s18
	s_cbranch_execz .LBB4_807
; %bb.790:                              ;   in Loop: Header=BB4_107 Depth=1
	s_and_saveexec_b32 s19, s5
	s_cbranch_execz .LBB4_806
; %bb.791:                              ;   in Loop: Header=BB4_107 Depth=1
	s_mov_b32 s31, exec_lo
	s_mov_b32 s30, exec_lo
	v_mbcnt_lo_u32_b32 v1, s31, 0
	s_waitcnt lgkmcnt(0)
	s_waitcnt_vscnt null, 0x0
	buffer_gl1_inv
	buffer_gl0_inv
	v_cmpx_eq_u32_e32 0, v1
	s_cbranch_execz .LBB4_793
; %bb.792:                              ;   in Loop: Header=BB4_107 Depth=1
	s_bcnt1_i32_b32 vcc_lo, s31
	s_delay_alu instid0(SALU_CYCLE_1)
	v_mov_b32_e32 v1, vcc_lo
	ds_add_u64 v0, v[1:2]
	s_cbranch_execnz .LBB4_1457
.LBB4_793:                              ;   in Loop: Header=BB4_107 Depth=1
	s_or_b32 exec_lo, exec_lo, s30
	s_cbranch_execnz .LBB4_1400
; %bb.794:                              ;   in Loop: Header=BB4_107 Depth=1
	ds_load_b64 v[10:11], v0
	v_add_co_u32 v26, vcc_lo, v26, v54
	v_add_co_ci_u32_e32 v27, vcc_lo, 0, v27, vcc_lo
	s_mov_b32 s30, exec_lo
	s_waitcnt lgkmcnt(0)
	s_delay_alu instid0(VALU_DEP_1)
	v_cmpx_lt_u64_e64 v[10:11], v[26:27]
	s_cbranch_execz .LBB4_805
; %bb.795:                              ;   in Loop: Header=BB4_107 Depth=1
	s_mov_b32 s31, 0
	s_mov_b32 s36, 0
                                        ; implicit-def: $sgpr34
                                        ; implicit-def: $sgpr35
	s_branch .LBB4_797
.LBB4_796:                              ;   in Loop: Header=BB4_797 Depth=2
	s_or_b32 exec_lo, exec_lo, s38
	s_delay_alu instid0(SALU_CYCLE_1) | instskip(NEXT) | instid1(SALU_CYCLE_1)
	s_and_b32 vcc_lo, exec_lo, vcc_lo
	s_or_b32 s31, vcc_lo, s31
	s_and_not1_b32 vcc_lo, s34, exec_lo
	s_and_b32 s34, s35, exec_lo
	s_delay_alu instid0(SALU_CYCLE_1)
	s_or_b32 s34, vcc_lo, s34
	s_and_not1_b32 exec_lo, exec_lo, s31
	s_cbranch_execz .LBB4_803
.LBB4_797:                              ;   Parent Loop BB4_107 Depth=1
                                        ; =>  This Inner Loop Header: Depth=2
	s_add_i32 s36, s36, 1
                                        ; implicit-def: $sgpr38
	s_delay_alu instid0(SALU_CYCLE_1) | instskip(SKIP_1) | instid1(SALU_CYCLE_1)
	s_cmpk_lg_i32 s36, 0x2710
	s_cselect_b32 s37, -1, 0
	s_and_b32 vcc_lo, exec_lo, s37
	s_cbranch_vccz .LBB4_801
.LBB4_798:                              ;   in Loop: Header=BB4_797 Depth=2
	s_and_not1_b32 s35, s35, exec_lo
	s_and_b32 s38, s38, exec_lo
	s_mov_b32 vcc_lo, -1
	s_or_b32 s35, s35, s38
	s_and_saveexec_b32 s38, s37
	s_cbranch_execz .LBB4_796
; %bb.799:                              ;   in Loop: Header=BB4_797 Depth=2
	s_sleep 1
	s_cbranch_execnz .LBB4_1503
; %bb.800:                              ;   in Loop: Header=BB4_797 Depth=2
	ds_load_b64 v[10:11], v0
	s_and_not1_b32 s35, s35, exec_lo
	s_waitcnt lgkmcnt(0)
	v_cmp_ge_u64_e32 vcc_lo, v[10:11], v[26:27]
	s_or_not1_b32 vcc_lo, vcc_lo, exec_lo
	s_branch .LBB4_796
.LBB4_801:                              ;   in Loop: Header=BB4_797 Depth=2
	s_cbranch_execnz .LBB4_1517
; %bb.802:                              ;   in Loop: Header=BB4_797 Depth=2
	ds_load_b64 v[10:11], v0
	s_and_not1_b32 s37, s37, exec_lo
	s_mov_b32 s36, 0
	s_mov_b32 s38, -1
	s_waitcnt lgkmcnt(0)
	flat_load_b32 v1, v[10:11] glc
	s_waitcnt vmcnt(0) lgkmcnt(0)
	buffer_gl1_inv
	buffer_gl0_inv
	v_cmp_eq_u32_e32 vcc_lo, 0, v1
	s_and_b32 vcc_lo, vcc_lo, exec_lo
	s_delay_alu instid0(SALU_CYCLE_1)
	s_or_b32 s37, s37, vcc_lo
	s_branch .LBB4_798
.LBB4_803:                              ;   in Loop: Header=BB4_107 Depth=1
	s_or_b32 exec_lo, exec_lo, s31
	s_and_saveexec_b32 vcc_lo, s34
	s_delay_alu instid0(SALU_CYCLE_1)
	s_xor_b32 vcc_lo, exec_lo, vcc_lo
	s_cbranch_execz .LBB4_805
; %bb.804:                              ;   in Loop: Header=BB4_107 Depth=1
	ds_store_b32 v0, v98
	s_cbranch_execnz .LBB4_1585
.LBB4_805:                              ;   in Loop: Header=BB4_107 Depth=1
	s_or_b32 exec_lo, exec_lo, s30
	;;#ASMSTART
	s_wakeup
	;;#ASMEND
.LBB4_806:                              ;   in Loop: Header=BB4_107 Depth=1
	s_or_b32 exec_lo, exec_lo, s19
.LBB4_807:                              ;   in Loop: Header=BB4_107 Depth=1
	s_and_not1_saveexec_b32 s18, s18
	s_cbranch_execz .LBB4_809
; %bb.808:                              ;   in Loop: Header=BB4_107 Depth=1
	s_waitcnt lgkmcnt(0)
	s_waitcnt_vscnt null, 0x0
	buffer_gl1_inv
	buffer_gl0_inv
	s_barrier
.LBB4_809:                              ;   in Loop: Header=BB4_107 Depth=1
	s_or_b32 exec_lo, exec_lo, s18
.LBB4_810:                              ;   in Loop: Header=BB4_107 Depth=1
	s_delay_alu instid0(SALU_CYCLE_1) | instskip(SKIP_1) | instid1(SALU_CYCLE_1)
	s_or_b32 exec_lo, exec_lo, s17
                                        ; implicit-def: $vgpr1
	s_and_saveexec_b32 s17, s11
	s_xor_b32 s17, exec_lo, s17
	s_cbranch_execz .LBB4_814
; %bb.811:                              ;   in Loop: Header=BB4_107 Depth=1
	v_and_b32_e32 v1, 16, v50
	s_delay_alu instid0(VALU_DEP_1) | instskip(SKIP_2) | instid1(SALU_CYCLE_1)
	v_cmp_ne_u32_e32 vcc_lo, 0, v1
	v_and_b32_e32 v1, 16, v50
	s_and_b32 s18, vcc_lo, s16
	s_and_saveexec_b32 s16, s18
	s_cbranch_execz .LBB4_813
; %bb.812:                              ;   in Loop: Header=BB4_107 Depth=1
	v_mov_b32_e32 v1, 1
	s_waitcnt lgkmcnt(0)
	s_waitcnt_vscnt null, 0x0
	buffer_gl1_inv
	buffer_gl0_inv
.LBB4_813:                              ;   in Loop: Header=BB4_107 Depth=1
	s_or_b32 exec_lo, exec_lo, s16
.LBB4_814:                              ;   in Loop: Header=BB4_107 Depth=1
	s_and_not1_saveexec_b32 s16, s17
	s_cbranch_execz .LBB4_836
; %bb.815:                              ;   in Loop: Header=BB4_107 Depth=1
	s_and_saveexec_b32 s17, s4
	s_delay_alu instid0(SALU_CYCLE_1)
	s_xor_b32 s17, exec_lo, s17
	s_cbranch_execz .LBB4_833
; %bb.816:                              ;   in Loop: Header=BB4_107 Depth=1
	s_and_saveexec_b32 s18, s5
	s_cbranch_execz .LBB4_832
; %bb.817:                              ;   in Loop: Header=BB4_107 Depth=1
	s_mov_b32 s30, exec_lo
	s_mov_b32 s19, exec_lo
	v_mbcnt_lo_u32_b32 v1, s30, 0
	;;#ASMSTART
	s_waitcnt lgkmcnt(0) vmcnt(0)
	;;#ASMEND
	s_delay_alu instid0(VALU_DEP_1)
	v_cmpx_eq_u32_e32 0, v1
	s_cbranch_execz .LBB4_819
; %bb.818:                              ;   in Loop: Header=BB4_107 Depth=1
	s_bcnt1_i32_b32 vcc_lo, s30
	s_delay_alu instid0(SALU_CYCLE_1)
	v_mov_b32_e32 v1, vcc_lo
	ds_add_u64 v0, v[1:2]
	s_cbranch_execnz .LBB4_1465
.LBB4_819:                              ;   in Loop: Header=BB4_107 Depth=1
	s_or_b32 exec_lo, exec_lo, s19
	s_cbranch_execnz .LBB4_1410
; %bb.820:                              ;   in Loop: Header=BB4_107 Depth=1
	ds_load_b64 v[10:11], v0
	v_add_co_u32 v26, vcc_lo, v26, v54
	v_add_co_ci_u32_e32 v27, vcc_lo, 0, v27, vcc_lo
	s_mov_b32 s19, exec_lo
	s_waitcnt lgkmcnt(0)
	s_delay_alu instid0(VALU_DEP_1)
	v_cmpx_lt_u64_e64 v[10:11], v[26:27]
	s_cbranch_execz .LBB4_831
; %bb.821:                              ;   in Loop: Header=BB4_107 Depth=1
	s_mov_b32 s30, 0
	s_mov_b32 s35, 0
                                        ; implicit-def: $sgpr31
                                        ; implicit-def: $sgpr34
	s_branch .LBB4_823
.LBB4_822:                              ;   in Loop: Header=BB4_823 Depth=2
	s_or_b32 exec_lo, exec_lo, s37
	s_delay_alu instid0(SALU_CYCLE_1) | instskip(NEXT) | instid1(SALU_CYCLE_1)
	s_and_b32 vcc_lo, exec_lo, vcc_lo
	s_or_b32 s30, vcc_lo, s30
	s_and_not1_b32 vcc_lo, s31, exec_lo
	s_and_b32 s31, s34, exec_lo
	s_delay_alu instid0(SALU_CYCLE_1)
	s_or_b32 s31, vcc_lo, s31
	s_and_not1_b32 exec_lo, exec_lo, s30
	s_cbranch_execz .LBB4_829
.LBB4_823:                              ;   Parent Loop BB4_107 Depth=1
                                        ; =>  This Inner Loop Header: Depth=2
	s_add_i32 s35, s35, 1
                                        ; implicit-def: $sgpr37
	s_delay_alu instid0(SALU_CYCLE_1) | instskip(SKIP_1) | instid1(SALU_CYCLE_1)
	s_cmpk_lg_i32 s35, 0x2710
	s_cselect_b32 s36, -1, 0
	s_and_b32 vcc_lo, exec_lo, s36
	s_cbranch_vccz .LBB4_827
.LBB4_824:                              ;   in Loop: Header=BB4_823 Depth=2
	s_and_not1_b32 s34, s34, exec_lo
	s_and_b32 s37, s37, exec_lo
	s_mov_b32 vcc_lo, -1
	s_or_b32 s34, s34, s37
	s_and_saveexec_b32 s37, s36
	s_cbranch_execz .LBB4_822
; %bb.825:                              ;   in Loop: Header=BB4_823 Depth=2
	s_sleep 1
	s_cbranch_execnz .LBB4_1509
; %bb.826:                              ;   in Loop: Header=BB4_823 Depth=2
	ds_load_b64 v[10:11], v0
	s_and_not1_b32 s34, s34, exec_lo
	s_waitcnt lgkmcnt(0)
	v_cmp_ge_u64_e32 vcc_lo, v[10:11], v[26:27]
	s_or_not1_b32 vcc_lo, vcc_lo, exec_lo
	s_branch .LBB4_822
.LBB4_827:                              ;   in Loop: Header=BB4_823 Depth=2
	s_cbranch_execnz .LBB4_1527
; %bb.828:                              ;   in Loop: Header=BB4_823 Depth=2
	ds_load_b64 v[10:11], v0
	s_and_not1_b32 s36, s36, exec_lo
	s_mov_b32 s35, 0
	s_mov_b32 s37, -1
	s_waitcnt lgkmcnt(0)
	s_waitcnt_vscnt null, 0x0
	flat_load_b32 v1, v[10:11] glc
	s_waitcnt vmcnt(0) lgkmcnt(0)
	buffer_gl1_inv
	buffer_gl0_inv
	v_cmp_eq_u32_e32 vcc_lo, 0, v1
	s_and_b32 vcc_lo, vcc_lo, exec_lo
	s_delay_alu instid0(SALU_CYCLE_1)
	s_or_b32 s36, s36, vcc_lo
	s_branch .LBB4_824
.LBB4_829:                              ;   in Loop: Header=BB4_107 Depth=1
	s_or_b32 exec_lo, exec_lo, s30
	s_and_saveexec_b32 vcc_lo, s31
	s_delay_alu instid0(SALU_CYCLE_1)
	s_xor_b32 vcc_lo, exec_lo, vcc_lo
	s_cbranch_execz .LBB4_831
; %bb.830:                              ;   in Loop: Header=BB4_107 Depth=1
	ds_store_b32 v0, v98
	s_cbranch_execnz .LBB4_1589
.LBB4_831:                              ;   in Loop: Header=BB4_107 Depth=1
	s_or_b32 exec_lo, exec_lo, s19
	;;#ASMSTART
	s_wakeup
	;;#ASMEND
.LBB4_832:                              ;   in Loop: Header=BB4_107 Depth=1
	s_or_b32 exec_lo, exec_lo, s18
.LBB4_833:                              ;   in Loop: Header=BB4_107 Depth=1
	s_and_not1_saveexec_b32 s17, s17
	s_cbranch_execz .LBB4_835
; %bb.834:                              ;   in Loop: Header=BB4_107 Depth=1
	;;#ASMSTART
	s_waitcnt lgkmcnt(0) vmcnt(0)
	;;#ASMEND
	s_waitcnt lgkmcnt(0)
	s_waitcnt_vscnt null, 0x0
	s_barrier
.LBB4_835:                              ;   in Loop: Header=BB4_107 Depth=1
	s_or_b32 exec_lo, exec_lo, s17
	v_and_b32_e32 v1, 16, v50
.LBB4_836:                              ;   in Loop: Header=BB4_107 Depth=1
	s_or_b32 exec_lo, exec_lo, s16
	s_delay_alu instid0(SALU_CYCLE_1) | instskip(NEXT) | instid1(VALU_DEP_1)
	s_mov_b32 s16, exec_lo
	v_cmpx_ne_u32_e32 0, v1
	s_cbranch_execz .LBB4_840
; %bb.837:                              ;   in Loop: Header=BB4_107 Depth=1
	s_and_saveexec_b32 s17, s13
	s_cbranch_execz .LBB4_839
; %bb.838:                              ;   in Loop: Header=BB4_107 Depth=1
	s_waitcnt lgkmcnt(0)
	s_waitcnt_vscnt null, 0x0
	flat_store_b32 v[24:25], v98
.LBB4_839:                              ;   in Loop: Header=BB4_107 Depth=1
	s_or_b32 exec_lo, exec_lo, s17
	v_add_co_u32 v8, vcc_lo, v8, 1
	v_add_co_ci_u32_e32 v9, vcc_lo, 0, v9, vcc_lo
	s_waitcnt lgkmcnt(0)
	s_waitcnt_vscnt null, 0x0
	flat_store_b64 v[20:21], v[8:9]
.LBB4_840:                              ;   in Loop: Header=BB4_107 Depth=1
	s_or_b32 exec_lo, exec_lo, s16
	v_mov_b32_e32 v12, v38
	v_readlane_b32 s17, v42, 0
.LBB4_841:                              ;   in Loop: Header=BB4_107 Depth=1
	s_delay_alu instid0(VALU_DEP_1)
	s_or_b32 exec_lo, exec_lo, s17
	s_mov_b32 s16, 0
	s_mov_b32 s18, s28
	s_and_saveexec_b32 s17, s14
	s_cbranch_execz .LBB4_918
; %bb.842:                              ;   in Loop: Header=BB4_107 Depth=1
	v_and_b32_e32 v1, 8, v50
	s_mov_b32 s18, -1
	s_mov_b32 s16, exec_lo
	s_delay_alu instid0(VALU_DEP_1)
	v_cmpx_ne_u32_e32 0, v1
	s_cbranch_execz .LBB4_856
; %bb.843:                              ;   in Loop: Header=BB4_107 Depth=1
	v_add_co_u32 v48, vcc_lo, v28, 8
	v_add_co_ci_u32_e32 v49, vcc_lo, 0, v29, vcc_lo
	v_add_co_u32 v10, vcc_lo, v8, 1
	v_add_co_ci_u32_e32 v11, vcc_lo, 0, v9, vcc_lo
	v_mov_b32_e32 v1, 1
	s_mov_b32 s18, exec_lo
	s_delay_alu instid0(VALU_DEP_2)
	v_cmpx_lt_u64_e64 v[48:49], v[10:11]
	s_cbranch_execz .LBB4_855
; %bb.844:                              ;   in Loop: Header=BB4_107 Depth=1
	v_mov_b32_e32 v1, 0
	s_mov_b32 s19, 0
                                        ; implicit-def: $sgpr30
	s_branch .LBB4_848
.LBB4_845:                              ;   in Loop: Header=BB4_848 Depth=2
	s_or_b32 exec_lo, exec_lo, s36
	v_mov_b32_e32 v13, 0
	s_or_not1_b32 s35, s35, exec_lo
.LBB4_846:                              ;   in Loop: Header=BB4_848 Depth=2
	s_or_b32 exec_lo, exec_lo, s34
	s_delay_alu instid0(VALU_DEP_1) | instskip(SKIP_2) | instid1(SALU_CYCLE_1)
	v_mov_b32_e32 v1, v13
	s_and_not1_b32 vcc_lo, s30, exec_lo
	s_and_b32 s30, s35, exec_lo
	s_or_b32 s30, vcc_lo, s30
.LBB4_847:                              ;   in Loop: Header=BB4_848 Depth=2
	s_or_b32 exec_lo, exec_lo, s31
	s_waitcnt vmcnt(0) lgkmcnt(0)
	v_add_co_u32 v48, vcc_lo, v28, 8
	v_add_co_ci_u32_e32 v49, vcc_lo, 0, v29, vcc_lo
	s_xor_b32 s31, s30, -1
	s_delay_alu instid0(VALU_DEP_1) | instskip(SKIP_1) | instid1(SALU_CYCLE_1)
	v_cmp_ge_u64_e32 vcc_lo, v[48:49], v[10:11]
	s_or_b32 vcc_lo, s31, vcc_lo
	s_and_b32 vcc_lo, exec_lo, vcc_lo
	s_delay_alu instid0(SALU_CYCLE_1) | instskip(NEXT) | instid1(SALU_CYCLE_1)
	s_or_b32 s19, vcc_lo, s19
	s_and_not1_b32 exec_lo, exec_lo, s19
	s_cbranch_execz .LBB4_854
.LBB4_848:                              ;   Parent Loop BB4_107 Depth=1
                                        ; =>  This Inner Loop Header: Depth=2
	s_sleep 1
	flat_load_b64 v[28:29], v[20:21] glc
	v_and_b32_e32 v13, 64, v50
	s_and_not1_b32 s30, s30, exec_lo
	s_mov_b32 s31, exec_lo
	s_delay_alu instid0(VALU_DEP_1)
	v_cmpx_eq_u32_e32 0, v13
	s_cbranch_execz .LBB4_847
; %bb.849:                              ;   in Loop: Header=BB4_848 Depth=2
	v_add_nc_u32_e32 v13, 1, v1
	s_mov_b32 s35, -1
	s_mov_b32 s34, exec_lo
	v_cmpx_lt_i32_e32 0x270e, v1
	s_cbranch_execz .LBB4_846
; %bb.850:                              ;   in Loop: Header=BB4_848 Depth=2
	s_cbranch_execnz .LBB4_1254
; %bb.851:                              ;   in Loop: Header=BB4_848 Depth=2
	ds_load_b64 v[48:49], v0
	s_mov_b32 s36, exec_lo
	s_waitcnt vmcnt(0) lgkmcnt(0)
	s_waitcnt_vscnt null, 0x0
	flat_load_b32 v1, v[48:49] glc
	s_waitcnt vmcnt(0) lgkmcnt(0)
	buffer_gl1_inv
	buffer_gl0_inv
	v_cmpx_ne_u32_e32 0, v1
	s_cbranch_execz .LBB4_845
; %bb.852:                              ;   in Loop: Header=BB4_848 Depth=2
	ds_store_b32 v0, v1
	s_cbranch_execnz .LBB4_1292
; %bb.853:                              ;   in Loop: Header=BB4_848 Depth=2
	v_or_b32_e32 v50, 64, v50
	s_xor_b32 s35, exec_lo, -1
	s_branch .LBB4_845
.LBB4_854:                              ;   in Loop: Header=BB4_107 Depth=1
	s_or_b32 exec_lo, exec_lo, s19
	v_and_b32_e32 v1, 8, v50
.LBB4_855:                              ;   in Loop: Header=BB4_107 Depth=1
	s_or_b32 exec_lo, exec_lo, s18
	s_delay_alu instid0(VALU_DEP_1)
	v_cmp_eq_u32_e32 vcc_lo, 0, v1
	;;#ASMSTART
	s_wakeup
	;;#ASMEND
	s_or_not1_b32 s18, vcc_lo, exec_lo
.LBB4_856:                              ;   in Loop: Header=BB4_107 Depth=1
	s_or_b32 exec_lo, exec_lo, s16
	v_sub_nc_u32_e32 v1, v99, v12
	s_xor_b32 s16, s18, -1
	s_delay_alu instid0(VALU_DEP_1)
	v_min_i32_e32 v10, v38, v1
	s_and_saveexec_b32 s18, s16
	s_cbranch_execz .LBB4_866
; %bb.857:                              ;   in Loop: Header=BB4_107 Depth=1
	v_and_b32_e32 v1, 0x100, v50
	s_mov_b32 s16, -1
                                        ; implicit-def: $vgpr11_vgpr12
	s_delay_alu instid0(VALU_DEP_1)
	v_cmp_ne_u32_e32 vcc_lo, 0, v1
	v_and_b32_e32 v1, 7, v8
	s_and_saveexec_b32 s19, vcc_lo
	s_cbranch_execz .LBB4_861
; %bb.858:                              ;   in Loop: Header=BB4_107 Depth=1
	s_delay_alu instid0(VALU_DEP_1)
	v_mad_u64_u32 v[38:39], null, v1, 24, v[6:7]
	v_ashrrev_i32_e32 v11, 31, v10
	flat_load_b32 v12, v[38:39]
	flat_store_b64 v[38:39], v[10:11] offset:8
	s_waitcnt vmcnt(0) lgkmcnt(1)
	v_cmp_ne_u32_e32 vcc_lo, 1, v12
	v_cmp_eq_u32_e64 s16, 1, v12
                                        ; implicit-def: $vgpr11_vgpr12
	s_delay_alu instid0(VALU_DEP_1)
	s_and_saveexec_b32 s30, s16
	s_cbranch_execz .LBB4_860
; %bb.859:                              ;   in Loop: Header=BB4_107 Depth=1
	flat_load_b32 v11, v[38:39] offset:4 glc
	s_waitcnt vmcnt(0) lgkmcnt(0)
	v_ashrrev_i32_e32 v12, 31, v11
.LBB4_860:                              ;   in Loop: Header=BB4_107 Depth=1
	s_or_b32 exec_lo, exec_lo, s30
	s_delay_alu instid0(SALU_CYCLE_1)
	s_or_not1_b32 s16, vcc_lo, exec_lo
.LBB4_861:                              ;   in Loop: Header=BB4_107 Depth=1
	s_or_b32 exec_lo, exec_lo, s19
	s_and_saveexec_b32 s19, s16
; %bb.862:                              ;   in Loop: Header=BB4_107 Depth=1
	v_mad_i64_i32 v[11:12], null, v1, v51, 0
; %bb.863:                              ;   in Loop: Header=BB4_107 Depth=1
	s_or_b32 exec_lo, exec_lo, s19
	s_delay_alu instid0(VALU_DEP_1) | instskip(SKIP_1) | instid1(VALU_DEP_3)
	v_add_co_u32 v11, vcc_lo, v22, v11
	v_and_b32_e32 v1, 0x2000, v50
	v_add_co_ci_u32_e32 v12, vcc_lo, v23, v12, vcc_lo
	s_mov_b32 s16, exec_lo
	ds_store_b64 v0, v[11:12] offset:792
	v_cmpx_ne_u32_e32 0, v1
	s_cbranch_execz .LBB4_865
; %bb.864:                              ;   in Loop: Header=BB4_107 Depth=1
	ds_load_b64 v[11:12], v0 offset:584
	s_waitcnt lgkmcnt(0)
	v_add_co_u32 v11, vcc_lo, v11, 1
	v_add_co_ci_u32_e32 v12, vcc_lo, 0, v12, vcc_lo
	ds_store_b64 v0, v[11:12] offset:584
.LBB4_865:                              ;   in Loop: Header=BB4_107 Depth=1
	s_or_b32 exec_lo, exec_lo, s16
	v_add_co_u32 v8, vcc_lo, v8, 1
	v_add_co_ci_u32_e32 v9, vcc_lo, 0, v9, vcc_lo
.LBB4_866:                              ;   in Loop: Header=BB4_107 Depth=1
	s_or_b32 exec_lo, exec_lo, s18
	s_and_saveexec_b32 s16, s3
	s_cbranch_execz .LBB4_888
; %bb.867:                              ;   in Loop: Header=BB4_107 Depth=1
	s_and_saveexec_b32 s18, s4
	s_delay_alu instid0(SALU_CYCLE_1)
	s_xor_b32 s18, exec_lo, s18
	s_cbranch_execz .LBB4_885
; %bb.868:                              ;   in Loop: Header=BB4_107 Depth=1
	s_and_saveexec_b32 s19, s5
	s_cbranch_execz .LBB4_884
; %bb.869:                              ;   in Loop: Header=BB4_107 Depth=1
	s_mov_b32 s31, exec_lo
	s_mov_b32 s30, exec_lo
	v_mbcnt_lo_u32_b32 v1, s31, 0
	s_waitcnt lgkmcnt(0)
	s_waitcnt_vscnt null, 0x0
	buffer_gl1_inv
	buffer_gl0_inv
	v_cmpx_eq_u32_e32 0, v1
	s_cbranch_execz .LBB4_871
; %bb.870:                              ;   in Loop: Header=BB4_107 Depth=1
	s_bcnt1_i32_b32 vcc_lo, s31
	s_delay_alu instid0(SALU_CYCLE_1)
	v_mov_b32_e32 v1, vcc_lo
	ds_add_u64 v0, v[1:2]
	s_cbranch_execnz .LBB4_1322
.LBB4_871:                              ;   in Loop: Header=BB4_107 Depth=1
	s_or_b32 exec_lo, exec_lo, s30
	s_cbranch_execnz .LBB4_1300
; %bb.872:                              ;   in Loop: Header=BB4_107 Depth=1
	ds_load_b64 v[11:12], v0
	v_add_co_u32 v26, vcc_lo, v26, v54
	v_add_co_ci_u32_e32 v27, vcc_lo, 0, v27, vcc_lo
	s_mov_b32 s30, exec_lo
	s_waitcnt lgkmcnt(0)
	s_delay_alu instid0(VALU_DEP_1)
	v_cmpx_lt_u64_e64 v[11:12], v[26:27]
	s_cbranch_execz .LBB4_883
; %bb.873:                              ;   in Loop: Header=BB4_107 Depth=1
	s_mov_b32 s31, 0
	s_mov_b32 s36, 0
                                        ; implicit-def: $sgpr34
                                        ; implicit-def: $sgpr35
	s_branch .LBB4_875
.LBB4_874:                              ;   in Loop: Header=BB4_875 Depth=2
	s_or_b32 exec_lo, exec_lo, s38
	s_delay_alu instid0(SALU_CYCLE_1) | instskip(NEXT) | instid1(SALU_CYCLE_1)
	s_and_b32 vcc_lo, exec_lo, vcc_lo
	s_or_b32 s31, vcc_lo, s31
	s_and_not1_b32 vcc_lo, s34, exec_lo
	s_and_b32 s34, s35, exec_lo
	s_delay_alu instid0(SALU_CYCLE_1)
	s_or_b32 s34, vcc_lo, s34
	s_and_not1_b32 exec_lo, exec_lo, s31
	s_cbranch_execz .LBB4_881
.LBB4_875:                              ;   Parent Loop BB4_107 Depth=1
                                        ; =>  This Inner Loop Header: Depth=2
	s_add_i32 s36, s36, 1
                                        ; implicit-def: $sgpr38
	s_delay_alu instid0(SALU_CYCLE_1) | instskip(SKIP_1) | instid1(SALU_CYCLE_1)
	s_cmpk_lg_i32 s36, 0x2710
	s_cselect_b32 s37, -1, 0
	s_and_b32 vcc_lo, exec_lo, s37
	s_cbranch_vccz .LBB4_879
.LBB4_876:                              ;   in Loop: Header=BB4_875 Depth=2
	s_and_not1_b32 s35, s35, exec_lo
	s_and_b32 s38, s38, exec_lo
	s_mov_b32 vcc_lo, -1
	s_or_b32 s35, s35, s38
	s_and_saveexec_b32 s38, s37
	s_cbranch_execz .LBB4_874
; %bb.877:                              ;   in Loop: Header=BB4_875 Depth=2
	s_sleep 1
	s_cbranch_execnz .LBB4_1374
; %bb.878:                              ;   in Loop: Header=BB4_875 Depth=2
	ds_load_b64 v[11:12], v0
	s_and_not1_b32 s35, s35, exec_lo
	s_waitcnt lgkmcnt(0)
	v_cmp_ge_u64_e32 vcc_lo, v[11:12], v[26:27]
	s_or_not1_b32 vcc_lo, vcc_lo, exec_lo
	s_branch .LBB4_874
.LBB4_879:                              ;   in Loop: Header=BB4_875 Depth=2
	s_cbranch_execnz .LBB4_1388
; %bb.880:                              ;   in Loop: Header=BB4_875 Depth=2
	ds_load_b64 v[11:12], v0
	s_and_not1_b32 s37, s37, exec_lo
	s_mov_b32 s36, 0
	s_mov_b32 s38, -1
	s_waitcnt lgkmcnt(0)
	flat_load_b32 v1, v[11:12] glc
	s_waitcnt vmcnt(0) lgkmcnt(0)
	buffer_gl1_inv
	buffer_gl0_inv
	v_cmp_eq_u32_e32 vcc_lo, 0, v1
	s_and_b32 vcc_lo, vcc_lo, exec_lo
	s_delay_alu instid0(SALU_CYCLE_1)
	s_or_b32 s37, s37, vcc_lo
	s_branch .LBB4_876
.LBB4_881:                              ;   in Loop: Header=BB4_107 Depth=1
	s_or_b32 exec_lo, exec_lo, s31
	s_and_saveexec_b32 vcc_lo, s34
	s_delay_alu instid0(SALU_CYCLE_1)
	s_xor_b32 vcc_lo, exec_lo, vcc_lo
	s_cbranch_execz .LBB4_883
; %bb.882:                              ;   in Loop: Header=BB4_107 Depth=1
	ds_store_b32 v0, v98
	s_cbranch_execnz .LBB4_1555
.LBB4_883:                              ;   in Loop: Header=BB4_107 Depth=1
	s_or_b32 exec_lo, exec_lo, s30
	;;#ASMSTART
	s_wakeup
	;;#ASMEND
.LBB4_884:                              ;   in Loop: Header=BB4_107 Depth=1
	s_or_b32 exec_lo, exec_lo, s19
.LBB4_885:                              ;   in Loop: Header=BB4_107 Depth=1
	s_and_not1_saveexec_b32 s18, s18
	s_cbranch_execz .LBB4_887
; %bb.886:                              ;   in Loop: Header=BB4_107 Depth=1
	s_waitcnt lgkmcnt(0)
	s_waitcnt_vscnt null, 0x0
	buffer_gl1_inv
	buffer_gl0_inv
	s_barrier
.LBB4_887:                              ;   in Loop: Header=BB4_107 Depth=1
	s_or_b32 exec_lo, exec_lo, s18
.LBB4_888:                              ;   in Loop: Header=BB4_107 Depth=1
	s_delay_alu instid0(SALU_CYCLE_1) | instskip(SKIP_1) | instid1(SALU_CYCLE_1)
	s_or_b32 exec_lo, exec_lo, s16
                                        ; implicit-def: $vgpr1
	s_and_saveexec_b32 s16, s11
	s_xor_b32 s18, exec_lo, s16
	s_cbranch_execz .LBB4_893
; %bb.889:                              ;   in Loop: Header=BB4_107 Depth=1
	s_cbranch_execnz .LBB4_1245
; %bb.890:                              ;   in Loop: Header=BB4_107 Depth=1
	ds_load_b32 v1, v0
	v_cmp_lt_i32_e32 vcc_lo, 0, v10
	s_waitcnt lgkmcnt(0)
	v_readfirstlane_b32 s16, v1
	v_and_b32_e32 v1, 16, v50
	s_delay_alu instid0(VALU_DEP_2) | instskip(NEXT) | instid1(VALU_DEP_1)
	s_cmp_eq_u32 s16, 0
	v_cmp_ne_u32_e64 s16, 0, v1
	s_cselect_b32 s19, -1, 0
	v_and_b32_e32 v1, 16, v50
	s_and_b32 s19, vcc_lo, s19
	s_delay_alu instid0(VALU_DEP_2) | instid1(SALU_CYCLE_1)
	s_and_b32 s19, s16, s19
	s_delay_alu instid0(SALU_CYCLE_1)
	s_and_saveexec_b32 s16, s19
	s_cbranch_execz .LBB4_892
; %bb.891:                              ;   in Loop: Header=BB4_107 Depth=1
	v_mov_b32_e32 v1, 1
	s_waitcnt_vscnt null, 0x0
	buffer_gl1_inv
	buffer_gl0_inv
.LBB4_892:                              ;   in Loop: Header=BB4_107 Depth=1
	s_or_b32 exec_lo, exec_lo, s16
.LBB4_893:                              ;   in Loop: Header=BB4_107 Depth=1
	s_and_not1_saveexec_b32 s16, s18
	s_cbranch_execz .LBB4_915
; %bb.894:                              ;   in Loop: Header=BB4_107 Depth=1
	s_and_saveexec_b32 s18, s4
	s_delay_alu instid0(SALU_CYCLE_1)
	s_xor_b32 s18, exec_lo, s18
	s_cbranch_execz .LBB4_912
; %bb.895:                              ;   in Loop: Header=BB4_107 Depth=1
	s_and_saveexec_b32 s19, s5
	s_cbranch_execz .LBB4_911
; %bb.896:                              ;   in Loop: Header=BB4_107 Depth=1
	s_mov_b32 s31, exec_lo
	s_mov_b32 s30, exec_lo
	v_mbcnt_lo_u32_b32 v1, s31, 0
	;;#ASMSTART
	s_waitcnt lgkmcnt(0) vmcnt(0)
	;;#ASMEND
	s_delay_alu instid0(VALU_DEP_1)
	v_cmpx_eq_u32_e32 0, v1
	s_cbranch_execz .LBB4_898
; %bb.897:                              ;   in Loop: Header=BB4_107 Depth=1
	s_bcnt1_i32_b32 vcc_lo, s31
	s_delay_alu instid0(SALU_CYCLE_1)
	v_mov_b32_e32 v1, vcc_lo
	ds_add_u64 v0, v[1:2]
	s_cbranch_execnz .LBB4_1342
.LBB4_898:                              ;   in Loop: Header=BB4_107 Depth=1
	s_or_b32 exec_lo, exec_lo, s30
	s_cbranch_execnz .LBB4_1318
; %bb.899:                              ;   in Loop: Header=BB4_107 Depth=1
	ds_load_b64 v[10:11], v0
	v_add_co_u32 v26, vcc_lo, v26, v54
	v_add_co_ci_u32_e32 v27, vcc_lo, 0, v27, vcc_lo
	s_mov_b32 s30, exec_lo
	s_waitcnt lgkmcnt(0)
	s_delay_alu instid0(VALU_DEP_1)
	v_cmpx_lt_u64_e64 v[10:11], v[26:27]
	s_cbranch_execz .LBB4_910
; %bb.900:                              ;   in Loop: Header=BB4_107 Depth=1
	s_mov_b32 s31, 0
	s_mov_b32 s36, 0
                                        ; implicit-def: $sgpr34
                                        ; implicit-def: $sgpr35
	s_branch .LBB4_902
.LBB4_901:                              ;   in Loop: Header=BB4_902 Depth=2
	s_or_b32 exec_lo, exec_lo, s38
	s_delay_alu instid0(SALU_CYCLE_1) | instskip(NEXT) | instid1(SALU_CYCLE_1)
	s_and_b32 vcc_lo, exec_lo, vcc_lo
	s_or_b32 s31, vcc_lo, s31
	s_and_not1_b32 vcc_lo, s34, exec_lo
	s_and_b32 s34, s35, exec_lo
	s_delay_alu instid0(SALU_CYCLE_1)
	s_or_b32 s34, vcc_lo, s34
	s_and_not1_b32 exec_lo, exec_lo, s31
	s_cbranch_execz .LBB4_908
.LBB4_902:                              ;   Parent Loop BB4_107 Depth=1
                                        ; =>  This Inner Loop Header: Depth=2
	s_add_i32 s36, s36, 1
                                        ; implicit-def: $sgpr38
	s_delay_alu instid0(SALU_CYCLE_1) | instskip(SKIP_1) | instid1(SALU_CYCLE_1)
	s_cmpk_lg_i32 s36, 0x2710
	s_cselect_b32 s37, -1, 0
	s_and_b32 vcc_lo, exec_lo, s37
	s_cbranch_vccz .LBB4_906
.LBB4_903:                              ;   in Loop: Header=BB4_902 Depth=2
	s_and_not1_b32 s35, s35, exec_lo
	s_and_b32 s38, s38, exec_lo
	s_mov_b32 vcc_lo, -1
	s_or_b32 s35, s35, s38
	s_and_saveexec_b32 s38, s37
	s_cbranch_execz .LBB4_901
; %bb.904:                              ;   in Loop: Header=BB4_902 Depth=2
	s_sleep 1
	s_cbranch_execnz .LBB4_1406
; %bb.905:                              ;   in Loop: Header=BB4_902 Depth=2
	ds_load_b64 v[10:11], v0
	s_and_not1_b32 s35, s35, exec_lo
	s_waitcnt lgkmcnt(0)
	v_cmp_ge_u64_e32 vcc_lo, v[10:11], v[26:27]
	s_or_not1_b32 vcc_lo, vcc_lo, exec_lo
	s_branch .LBB4_901
.LBB4_906:                              ;   in Loop: Header=BB4_902 Depth=2
	s_cbranch_execnz .LBB4_1443
; %bb.907:                              ;   in Loop: Header=BB4_902 Depth=2
	ds_load_b64 v[10:11], v0
	s_and_not1_b32 s37, s37, exec_lo
	s_mov_b32 s36, 0
	s_mov_b32 s38, -1
	s_waitcnt lgkmcnt(0)
	s_waitcnt_vscnt null, 0x0
	flat_load_b32 v1, v[10:11] glc
	s_waitcnt vmcnt(0) lgkmcnt(0)
	buffer_gl1_inv
	buffer_gl0_inv
	v_cmp_eq_u32_e32 vcc_lo, 0, v1
	s_and_b32 vcc_lo, vcc_lo, exec_lo
	s_delay_alu instid0(SALU_CYCLE_1)
	s_or_b32 s37, s37, vcc_lo
	s_branch .LBB4_903
.LBB4_908:                              ;   in Loop: Header=BB4_107 Depth=1
	s_or_b32 exec_lo, exec_lo, s31
	s_and_saveexec_b32 vcc_lo, s34
	s_delay_alu instid0(SALU_CYCLE_1)
	s_xor_b32 vcc_lo, exec_lo, vcc_lo
	s_cbranch_execz .LBB4_910
; %bb.909:                              ;   in Loop: Header=BB4_107 Depth=1
	ds_store_b32 v0, v98
	s_cbranch_execnz .LBB4_1565
.LBB4_910:                              ;   in Loop: Header=BB4_107 Depth=1
	s_or_b32 exec_lo, exec_lo, s30
	;;#ASMSTART
	s_wakeup
	;;#ASMEND
.LBB4_911:                              ;   in Loop: Header=BB4_107 Depth=1
	s_or_b32 exec_lo, exec_lo, s19
.LBB4_912:                              ;   in Loop: Header=BB4_107 Depth=1
	s_and_not1_saveexec_b32 s18, s18
	s_cbranch_execz .LBB4_914
; %bb.913:                              ;   in Loop: Header=BB4_107 Depth=1
	;;#ASMSTART
	s_waitcnt lgkmcnt(0) vmcnt(0)
	;;#ASMEND
	s_waitcnt lgkmcnt(0)
	s_waitcnt_vscnt null, 0x0
	s_barrier
.LBB4_914:                              ;   in Loop: Header=BB4_107 Depth=1
	s_or_b32 exec_lo, exec_lo, s18
	v_and_b32_e32 v1, 16, v50
.LBB4_915:                              ;   in Loop: Header=BB4_107 Depth=1
	s_or_b32 exec_lo, exec_lo, s16
	s_mov_b32 s16, 0
	s_mov_b32 s18, s28
	s_mov_b32 s19, exec_lo
	v_cmpx_ne_u32_e32 0, v1
	s_xor_b32 s19, exec_lo, s19
; %bb.916:                              ;   in Loop: Header=BB4_107 Depth=1
	s_and_not1_b32 s16, s28, exec_lo
	s_and_b32 s18, s12, exec_lo
	s_delay_alu instid0(SALU_CYCLE_1)
	s_or_b32 s18, s16, s18
	s_and_b32 s16, s13, exec_lo
; %bb.917:                              ;   in Loop: Header=BB4_107 Depth=1
	s_or_b32 exec_lo, exec_lo, s19
	s_delay_alu instid0(SALU_CYCLE_1)
	s_and_not1_b32 s19, s28, exec_lo
	s_and_b32 s18, s18, exec_lo
	s_and_b32 s16, s16, exec_lo
	s_or_b32 s18, s19, s18
.LBB4_918:                              ;   in Loop: Header=BB4_107 Depth=1
	s_or_b32 exec_lo, exec_lo, s17
	s_delay_alu instid0(SALU_CYCLE_1) | instskip(SKIP_1) | instid1(SALU_CYCLE_1)
	s_and_not1_b32 s17, s28, exec_lo
	s_and_b32 s18, s18, exec_lo
                                        ; implicit-def: $vgpr38
                                        ; implicit-def: $vgpr99
                                        ; implicit-def: $vgpr1
                                        ; implicit-def: $vgpr10
	s_or_b32 s17, s17, s18
	s_and_b32 s18, s16, exec_lo
.LBB4_919:                              ;   in Loop: Header=BB4_107 Depth=1
	s_and_not1_saveexec_b32 s19, vcc_hi
	s_cbranch_execz .LBB4_1158
; %bb.920:                              ;   in Loop: Header=BB4_107 Depth=1
	v_mov_b32_e32 v12, 0
	s_and_saveexec_b32 vcc_hi, s15
	s_cbranch_execz .LBB4_1080
; %bb.921:                              ;   in Loop: Header=BB4_107 Depth=1
	s_and_saveexec_b32 s15, s0
	s_cbranch_execz .LBB4_924
; %bb.922:                              ;   in Loop: Header=BB4_107 Depth=1
	s_cbranch_execnz .LBB4_1223
; %bb.923:                              ;   in Loop: Header=BB4_107 Depth=1
	ds_load_b64 v[11:12], v0
	s_waitcnt lgkmcnt(0)
	v_add_co_u32 v11, vcc_lo, v11, v1
	v_add_co_ci_u32_e32 v12, vcc_lo, v12, v10, vcc_lo
	v_mov_b32_e32 v1, v2
	ds_store_b64 v0, v[11:12]
	ds_store_b64 v0, v[1:2]
.LBB4_924:                              ;   in Loop: Header=BB4_107 Depth=1
	s_or_b32 exec_lo, exec_lo, s15
	v_and_b32_e32 v1, 8, v50
	s_mov_b32 s16, -1
	s_mov_b32 s15, exec_lo
	s_delay_alu instid0(VALU_DEP_1)
	v_cmpx_ne_u32_e32 0, v1
	s_cbranch_execz .LBB4_938
; %bb.925:                              ;   in Loop: Header=BB4_107 Depth=1
	v_add_co_u32 v12, vcc_lo, v28, 8
	v_add_co_ci_u32_e32 v13, vcc_lo, 0, v29, vcc_lo
	v_add_co_u32 v10, vcc_lo, v8, 1
	v_add_co_ci_u32_e32 v11, vcc_lo, 0, v9, vcc_lo
	v_mov_b32_e32 v1, 1
	s_mov_b32 s16, exec_lo
	s_delay_alu instid0(VALU_DEP_2)
	v_cmpx_lt_u64_e64 v[12:13], v[10:11]
	s_cbranch_execz .LBB4_937
; %bb.926:                              ;   in Loop: Header=BB4_107 Depth=1
	v_mov_b32_e32 v1, 0
	s_mov_b32 s30, 0
                                        ; implicit-def: $sgpr31
	s_branch .LBB4_930
.LBB4_927:                              ;   in Loop: Header=BB4_930 Depth=2
	s_or_b32 exec_lo, exec_lo, s37
	v_mov_b32_e32 v12, 0
	s_or_not1_b32 s36, s36, exec_lo
.LBB4_928:                              ;   in Loop: Header=BB4_930 Depth=2
	s_or_b32 exec_lo, exec_lo, s35
	s_delay_alu instid0(VALU_DEP_1) | instskip(SKIP_2) | instid1(SALU_CYCLE_1)
	v_mov_b32_e32 v1, v12
	s_and_not1_b32 vcc_lo, s31, exec_lo
	s_and_b32 s31, s36, exec_lo
	s_or_b32 s31, vcc_lo, s31
.LBB4_929:                              ;   in Loop: Header=BB4_930 Depth=2
	s_or_b32 exec_lo, exec_lo, s34
	s_waitcnt vmcnt(0) lgkmcnt(0)
	v_add_co_u32 v12, vcc_lo, v28, 8
	v_add_co_ci_u32_e32 v13, vcc_lo, 0, v29, vcc_lo
	s_xor_b32 s34, s31, -1
	s_delay_alu instid0(VALU_DEP_1) | instskip(SKIP_1) | instid1(SALU_CYCLE_1)
	v_cmp_ge_u64_e32 vcc_lo, v[12:13], v[10:11]
	s_or_b32 vcc_lo, s34, vcc_lo
	s_and_b32 vcc_lo, exec_lo, vcc_lo
	s_delay_alu instid0(SALU_CYCLE_1) | instskip(NEXT) | instid1(SALU_CYCLE_1)
	s_or_b32 s30, vcc_lo, s30
	s_and_not1_b32 exec_lo, exec_lo, s30
	s_cbranch_execz .LBB4_936
.LBB4_930:                              ;   Parent Loop BB4_107 Depth=1
                                        ; =>  This Inner Loop Header: Depth=2
	s_sleep 1
	flat_load_b64 v[28:29], v[20:21] glc
	v_and_b32_e32 v12, 64, v50
	s_and_not1_b32 s31, s31, exec_lo
	s_mov_b32 s34, exec_lo
	s_delay_alu instid0(VALU_DEP_1)
	v_cmpx_eq_u32_e32 0, v12
	s_cbranch_execz .LBB4_929
; %bb.931:                              ;   in Loop: Header=BB4_930 Depth=2
	v_add_nc_u32_e32 v12, 1, v1
	s_mov_b32 s36, -1
	s_mov_b32 s35, exec_lo
	v_cmpx_lt_i32_e32 0x270e, v1
	s_cbranch_execz .LBB4_928
; %bb.932:                              ;   in Loop: Header=BB4_930 Depth=2
	s_cbranch_execnz .LBB4_1256
; %bb.933:                              ;   in Loop: Header=BB4_930 Depth=2
	ds_load_b64 v[12:13], v0
	s_mov_b32 s37, exec_lo
	s_waitcnt vmcnt(0) lgkmcnt(0)
	s_waitcnt_vscnt null, 0x0
	flat_load_b32 v1, v[12:13] glc
	s_waitcnt vmcnt(0) lgkmcnt(0)
	buffer_gl1_inv
	buffer_gl0_inv
	v_cmpx_ne_u32_e32 0, v1
	s_cbranch_execz .LBB4_927
; %bb.934:                              ;   in Loop: Header=BB4_930 Depth=2
	ds_store_b32 v0, v1
	s_cbranch_execnz .LBB4_1294
; %bb.935:                              ;   in Loop: Header=BB4_930 Depth=2
	v_or_b32_e32 v50, 64, v50
	s_xor_b32 s36, exec_lo, -1
	s_branch .LBB4_927
.LBB4_936:                              ;   in Loop: Header=BB4_107 Depth=1
	s_or_b32 exec_lo, exec_lo, s30
	v_and_b32_e32 v1, 8, v50
.LBB4_937:                              ;   in Loop: Header=BB4_107 Depth=1
	s_or_b32 exec_lo, exec_lo, s16
	s_delay_alu instid0(VALU_DEP_1)
	v_cmp_eq_u32_e32 vcc_lo, 0, v1
	;;#ASMSTART
	s_wakeup
	;;#ASMEND
	s_or_not1_b32 s16, vcc_lo, exec_lo
.LBB4_938:                              ;   in Loop: Header=BB4_107 Depth=1
	s_or_b32 exec_lo, exec_lo, s15
	v_min_i32_e32 v38, v38, v99
	s_xor_b32 s15, s16, -1
	s_delay_alu instid0(SALU_CYCLE_1)
	s_and_saveexec_b32 s16, s15
	s_cbranch_execz .LBB4_948
; %bb.939:                              ;   in Loop: Header=BB4_107 Depth=1
	v_and_b32_e32 v1, 0x100, v50
	s_mov_b32 s15, -1
                                        ; implicit-def: $vgpr10_vgpr11
	s_delay_alu instid0(VALU_DEP_1)
	v_cmp_ne_u32_e32 vcc_lo, 0, v1
	v_and_b32_e32 v1, 7, v8
	s_and_saveexec_b32 s30, vcc_lo
	s_cbranch_execz .LBB4_943
; %bb.940:                              ;   in Loop: Header=BB4_107 Depth=1
	s_delay_alu instid0(VALU_DEP_1)
	v_mad_u64_u32 v[12:13], null, v1, 24, v[6:7]
	v_ashrrev_i32_e32 v39, 31, v38
	flat_load_b32 v10, v[12:13]
	flat_store_b64 v[12:13], v[38:39] offset:8
	s_waitcnt vmcnt(0) lgkmcnt(1)
	v_cmp_ne_u32_e32 vcc_lo, 1, v10
	v_cmp_eq_u32_e64 s15, 1, v10
                                        ; implicit-def: $vgpr10_vgpr11
	s_delay_alu instid0(VALU_DEP_1)
	s_and_saveexec_b32 s31, s15
	s_cbranch_execz .LBB4_942
; %bb.941:                              ;   in Loop: Header=BB4_107 Depth=1
	flat_load_b32 v10, v[12:13] offset:4 glc
	s_waitcnt vmcnt(0) lgkmcnt(0)
	v_ashrrev_i32_e32 v11, 31, v10
.LBB4_942:                              ;   in Loop: Header=BB4_107 Depth=1
	s_or_b32 exec_lo, exec_lo, s31
	s_delay_alu instid0(SALU_CYCLE_1)
	s_or_not1_b32 s15, vcc_lo, exec_lo
.LBB4_943:                              ;   in Loop: Header=BB4_107 Depth=1
	s_or_b32 exec_lo, exec_lo, s30
	s_and_saveexec_b32 vcc_lo, s15
; %bb.944:                              ;   in Loop: Header=BB4_107 Depth=1
	v_mad_i64_i32 v[10:11], null, v1, v51, 0
; %bb.945:                              ;   in Loop: Header=BB4_107 Depth=1
	s_or_b32 exec_lo, exec_lo, vcc_lo
	s_delay_alu instid0(VALU_DEP_1) | instskip(SKIP_1) | instid1(VALU_DEP_3)
	v_add_co_u32 v10, vcc_lo, v22, v10
	v_and_b32_e32 v1, 0x2000, v50
	v_add_co_ci_u32_e32 v11, vcc_lo, v23, v11, vcc_lo
	s_mov_b32 s15, exec_lo
	ds_store_b64 v0, v[10:11] offset:784
	v_cmpx_ne_u32_e32 0, v1
	s_cbranch_execz .LBB4_947
; %bb.946:                              ;   in Loop: Header=BB4_107 Depth=1
	ds_load_b64 v[10:11], v0 offset:584
	s_waitcnt lgkmcnt(0)
	v_add_co_u32 v10, vcc_lo, v10, 1
	v_add_co_ci_u32_e32 v11, vcc_lo, 0, v11, vcc_lo
	ds_store_b64 v0, v[10:11] offset:584
.LBB4_947:                              ;   in Loop: Header=BB4_107 Depth=1
	s_or_b32 exec_lo, exec_lo, s15
	v_add_co_u32 v8, vcc_lo, v8, 1
	v_add_co_ci_u32_e32 v9, vcc_lo, 0, v9, vcc_lo
.LBB4_948:                              ;   in Loop: Header=BB4_107 Depth=1
	s_or_b32 exec_lo, exec_lo, s16
	s_and_saveexec_b32 s15, s3
	s_cbranch_execz .LBB4_970
; %bb.949:                              ;   in Loop: Header=BB4_107 Depth=1
	s_and_saveexec_b32 s16, s4
	s_delay_alu instid0(SALU_CYCLE_1)
	s_xor_b32 s16, exec_lo, s16
	s_cbranch_execz .LBB4_967
; %bb.950:                              ;   in Loop: Header=BB4_107 Depth=1
	s_and_saveexec_b32 s30, s5
	s_cbranch_execz .LBB4_966
; %bb.951:                              ;   in Loop: Header=BB4_107 Depth=1
	s_mov_b32 s34, exec_lo
	s_mov_b32 s31, exec_lo
	v_mbcnt_lo_u32_b32 v1, s34, 0
	s_waitcnt lgkmcnt(0)
	s_waitcnt_vscnt null, 0x0
	buffer_gl1_inv
	buffer_gl0_inv
	v_cmpx_eq_u32_e32 0, v1
	s_cbranch_execz .LBB4_953
; %bb.952:                              ;   in Loop: Header=BB4_107 Depth=1
	s_bcnt1_i32_b32 vcc_lo, s34
	s_delay_alu instid0(SALU_CYCLE_1)
	v_mov_b32_e32 v1, vcc_lo
	ds_add_u64 v0, v[1:2]
	s_cbranch_execnz .LBB4_1324
.LBB4_953:                              ;   in Loop: Header=BB4_107 Depth=1
	s_or_b32 exec_lo, exec_lo, s31
	s_cbranch_execnz .LBB4_1302
; %bb.954:                              ;   in Loop: Header=BB4_107 Depth=1
	ds_load_b64 v[10:11], v0
	v_add_co_u32 v26, vcc_lo, v26, v54
	v_add_co_ci_u32_e32 v27, vcc_lo, 0, v27, vcc_lo
	s_mov_b32 s31, exec_lo
	s_waitcnt lgkmcnt(0)
	s_delay_alu instid0(VALU_DEP_1)
	v_cmpx_lt_u64_e64 v[10:11], v[26:27]
	s_cbranch_execz .LBB4_965
; %bb.955:                              ;   in Loop: Header=BB4_107 Depth=1
	s_mov_b32 s34, 0
	s_mov_b32 s37, 0
                                        ; implicit-def: $sgpr35
                                        ; implicit-def: $sgpr36
	s_branch .LBB4_957
.LBB4_956:                              ;   in Loop: Header=BB4_957 Depth=2
	s_or_b32 exec_lo, exec_lo, s39
	s_delay_alu instid0(SALU_CYCLE_1) | instskip(NEXT) | instid1(SALU_CYCLE_1)
	s_and_b32 vcc_lo, exec_lo, vcc_lo
	s_or_b32 s34, vcc_lo, s34
	s_and_not1_b32 vcc_lo, s35, exec_lo
	s_and_b32 s35, s36, exec_lo
	s_delay_alu instid0(SALU_CYCLE_1)
	s_or_b32 s35, vcc_lo, s35
	s_and_not1_b32 exec_lo, exec_lo, s34
	s_cbranch_execz .LBB4_963
.LBB4_957:                              ;   Parent Loop BB4_107 Depth=1
                                        ; =>  This Inner Loop Header: Depth=2
	s_add_i32 s37, s37, 1
                                        ; implicit-def: $sgpr39
	s_delay_alu instid0(SALU_CYCLE_1) | instskip(SKIP_1) | instid1(SALU_CYCLE_1)
	s_cmpk_lg_i32 s37, 0x2710
	s_cselect_b32 s38, -1, 0
	s_and_b32 vcc_lo, exec_lo, s38
	s_cbranch_vccz .LBB4_961
.LBB4_958:                              ;   in Loop: Header=BB4_957 Depth=2
	s_and_not1_b32 s36, s36, exec_lo
	s_and_b32 s39, s39, exec_lo
	s_mov_b32 vcc_lo, -1
	s_or_b32 s36, s36, s39
	s_and_saveexec_b32 s39, s38
	s_cbranch_execz .LBB4_956
; %bb.959:                              ;   in Loop: Header=BB4_957 Depth=2
	s_sleep 1
	s_cbranch_execnz .LBB4_1378
; %bb.960:                              ;   in Loop: Header=BB4_957 Depth=2
	ds_load_b64 v[10:11], v0
	s_and_not1_b32 s36, s36, exec_lo
	s_waitcnt lgkmcnt(0)
	v_cmp_ge_u64_e32 vcc_lo, v[10:11], v[26:27]
	s_or_not1_b32 vcc_lo, vcc_lo, exec_lo
	s_branch .LBB4_956
.LBB4_961:                              ;   in Loop: Header=BB4_957 Depth=2
	s_cbranch_execnz .LBB4_1390
; %bb.962:                              ;   in Loop: Header=BB4_957 Depth=2
	ds_load_b64 v[10:11], v0
	s_and_not1_b32 s38, s38, exec_lo
	s_mov_b32 s37, 0
	s_mov_b32 s39, -1
	s_waitcnt lgkmcnt(0)
	flat_load_b32 v1, v[10:11] glc
	s_waitcnt vmcnt(0) lgkmcnt(0)
	buffer_gl1_inv
	buffer_gl0_inv
	v_cmp_eq_u32_e32 vcc_lo, 0, v1
	s_and_b32 vcc_lo, vcc_lo, exec_lo
	s_delay_alu instid0(SALU_CYCLE_1)
	s_or_b32 s38, s38, vcc_lo
	s_branch .LBB4_958
.LBB4_963:                              ;   in Loop: Header=BB4_107 Depth=1
	s_or_b32 exec_lo, exec_lo, s34
	s_and_saveexec_b32 vcc_lo, s35
	s_delay_alu instid0(SALU_CYCLE_1)
	s_xor_b32 vcc_lo, exec_lo, vcc_lo
	s_cbranch_execz .LBB4_965
; %bb.964:                              ;   in Loop: Header=BB4_107 Depth=1
	ds_store_b32 v0, v98
	s_cbranch_execnz .LBB4_1557
.LBB4_965:                              ;   in Loop: Header=BB4_107 Depth=1
	s_or_b32 exec_lo, exec_lo, s31
	;;#ASMSTART
	s_wakeup
	;;#ASMEND
.LBB4_966:                              ;   in Loop: Header=BB4_107 Depth=1
	s_or_b32 exec_lo, exec_lo, s30
.LBB4_967:                              ;   in Loop: Header=BB4_107 Depth=1
	s_and_not1_saveexec_b32 s16, s16
	s_cbranch_execz .LBB4_969
; %bb.968:                              ;   in Loop: Header=BB4_107 Depth=1
	s_waitcnt lgkmcnt(0)
	s_waitcnt_vscnt null, 0x0
	buffer_gl1_inv
	buffer_gl0_inv
	s_barrier
.LBB4_969:                              ;   in Loop: Header=BB4_107 Depth=1
	s_or_b32 exec_lo, exec_lo, s16
.LBB4_970:                              ;   in Loop: Header=BB4_107 Depth=1
	s_delay_alu instid0(SALU_CYCLE_1)
	s_or_b32 exec_lo, exec_lo, s15
	s_cbranch_execnz .LBB4_1221
; %bb.971:                              ;   in Loop: Header=BB4_107 Depth=1
	ds_load_b32 v10, v0
	v_and_b32_e32 v1, 0x4000, v50
	s_delay_alu instid0(VALU_DEP_1) | instskip(SKIP_1) | instid1(SALU_CYCLE_1)
	v_cmp_ne_u32_e32 vcc_lo, 0, v1
	s_and_b32 s16, s27, vcc_lo
	s_and_saveexec_b32 s15, s16
	s_cbranch_execz .LBB4_993
; %bb.972:                              ;   in Loop: Header=BB4_107 Depth=1
	s_and_saveexec_b32 s16, s4
	s_delay_alu instid0(SALU_CYCLE_1)
	s_xor_b32 s16, exec_lo, s16
	s_cbranch_execz .LBB4_990
; %bb.973:                              ;   in Loop: Header=BB4_107 Depth=1
	s_and_saveexec_b32 s30, s5
	s_cbranch_execz .LBB4_989
; %bb.974:                              ;   in Loop: Header=BB4_107 Depth=1
	s_mov_b32 s34, exec_lo
	s_mov_b32 s31, exec_lo
	v_mbcnt_lo_u32_b32 v1, s34, 0
	s_waitcnt lgkmcnt(0)
	s_waitcnt_vscnt null, 0x0
	buffer_gl1_inv
	buffer_gl0_inv
	v_cmpx_eq_u32_e32 0, v1
	s_cbranch_execz .LBB4_976
; %bb.975:                              ;   in Loop: Header=BB4_107 Depth=1
	s_bcnt1_i32_b32 vcc_lo, s34
	s_delay_alu instid0(SALU_CYCLE_1)
	v_mov_b32_e32 v1, vcc_lo
	ds_add_u64 v0, v[1:2]
	s_cbranch_execnz .LBB4_1368
.LBB4_976:                              ;   in Loop: Header=BB4_107 Depth=1
	s_or_b32 exec_lo, exec_lo, s31
	s_cbranch_execnz .LBB4_1344
; %bb.977:                              ;   in Loop: Header=BB4_107 Depth=1
	ds_load_b64 v[11:12], v0
	v_add_co_u32 v26, vcc_lo, v26, v54
	v_add_co_ci_u32_e32 v27, vcc_lo, 0, v27, vcc_lo
	s_mov_b32 s31, exec_lo
	s_waitcnt lgkmcnt(0)
	s_delay_alu instid0(VALU_DEP_1)
	v_cmpx_lt_u64_e64 v[11:12], v[26:27]
	s_cbranch_execz .LBB4_988
; %bb.978:                              ;   in Loop: Header=BB4_107 Depth=1
	s_mov_b32 s34, 0
	s_mov_b32 s37, 0
                                        ; implicit-def: $sgpr35
                                        ; implicit-def: $sgpr36
	s_branch .LBB4_980
.LBB4_979:                              ;   in Loop: Header=BB4_980 Depth=2
	s_or_b32 exec_lo, exec_lo, s39
	s_delay_alu instid0(SALU_CYCLE_1) | instskip(NEXT) | instid1(SALU_CYCLE_1)
	s_and_b32 vcc_lo, exec_lo, vcc_lo
	s_or_b32 s34, vcc_lo, s34
	s_and_not1_b32 vcc_lo, s35, exec_lo
	s_and_b32 s35, s36, exec_lo
	s_delay_alu instid0(SALU_CYCLE_1)
	s_or_b32 s35, vcc_lo, s35
	s_and_not1_b32 exec_lo, exec_lo, s34
	s_cbranch_execz .LBB4_986
.LBB4_980:                              ;   Parent Loop BB4_107 Depth=1
                                        ; =>  This Inner Loop Header: Depth=2
	s_add_i32 s37, s37, 1
                                        ; implicit-def: $sgpr39
	s_delay_alu instid0(SALU_CYCLE_1) | instskip(SKIP_1) | instid1(SALU_CYCLE_1)
	s_cmpk_lg_i32 s37, 0x2710
	s_cselect_b32 s38, -1, 0
	s_and_b32 vcc_lo, exec_lo, s38
	s_cbranch_vccz .LBB4_984
.LBB4_981:                              ;   in Loop: Header=BB4_980 Depth=2
	s_and_not1_b32 s36, s36, exec_lo
	s_and_b32 s39, s39, exec_lo
	s_mov_b32 vcc_lo, -1
	s_or_b32 s36, s36, s39
	s_and_saveexec_b32 s39, s38
	s_cbranch_execz .LBB4_979
; %bb.982:                              ;   in Loop: Header=BB4_980 Depth=2
	s_sleep 1
	s_cbranch_execnz .LBB4_1463
; %bb.983:                              ;   in Loop: Header=BB4_980 Depth=2
	ds_load_b64 v[11:12], v0
	s_and_not1_b32 s36, s36, exec_lo
	s_waitcnt lgkmcnt(0)
	v_cmp_ge_u64_e32 vcc_lo, v[11:12], v[26:27]
	s_or_not1_b32 vcc_lo, vcc_lo, exec_lo
	s_branch .LBB4_979
.LBB4_984:                              ;   in Loop: Header=BB4_980 Depth=2
	s_cbranch_execnz .LBB4_1479
; %bb.985:                              ;   in Loop: Header=BB4_980 Depth=2
	ds_load_b64 v[11:12], v0
	s_and_not1_b32 s38, s38, exec_lo
	s_mov_b32 s37, 0
	s_mov_b32 s39, -1
	s_waitcnt lgkmcnt(0)
	flat_load_b32 v1, v[11:12] glc
	s_waitcnt vmcnt(0) lgkmcnt(0)
	buffer_gl1_inv
	buffer_gl0_inv
	v_cmp_eq_u32_e32 vcc_lo, 0, v1
	s_and_b32 vcc_lo, vcc_lo, exec_lo
	s_delay_alu instid0(SALU_CYCLE_1)
	s_or_b32 s38, s38, vcc_lo
	s_branch .LBB4_981
.LBB4_986:                              ;   in Loop: Header=BB4_107 Depth=1
	s_or_b32 exec_lo, exec_lo, s34
	s_and_saveexec_b32 vcc_lo, s35
	s_delay_alu instid0(SALU_CYCLE_1)
	s_xor_b32 vcc_lo, exec_lo, vcc_lo
	s_cbranch_execz .LBB4_988
; %bb.987:                              ;   in Loop: Header=BB4_107 Depth=1
	ds_store_b32 v0, v98
	s_cbranch_execnz .LBB4_1577
.LBB4_988:                              ;   in Loop: Header=BB4_107 Depth=1
	s_or_b32 exec_lo, exec_lo, s31
	;;#ASMSTART
	s_wakeup
	;;#ASMEND
.LBB4_989:                              ;   in Loop: Header=BB4_107 Depth=1
	s_or_b32 exec_lo, exec_lo, s30
.LBB4_990:                              ;   in Loop: Header=BB4_107 Depth=1
	s_and_not1_saveexec_b32 s16, s16
	s_cbranch_execz .LBB4_992
; %bb.991:                              ;   in Loop: Header=BB4_107 Depth=1
	s_waitcnt lgkmcnt(0)
	s_waitcnt_vscnt null, 0x0
	buffer_gl1_inv
	buffer_gl0_inv
	s_barrier
.LBB4_992:                              ;   in Loop: Header=BB4_107 Depth=1
	s_or_b32 exec_lo, exec_lo, s16
.LBB4_993:                              ;   in Loop: Header=BB4_107 Depth=1
	s_delay_alu instid0(SALU_CYCLE_1)
	s_or_b32 exec_lo, exec_lo, s15
	s_cbranch_execnz .LBB4_1262
; %bb.994:                              ;   in Loop: Header=BB4_107 Depth=1
	ds_load_b64 v[11:12], v0
	s_waitcnt lgkmcnt(0)
	v_cmp_eq_u64_e32 vcc_lo, 0, v[11:12]
	s_or_b32 s15, vcc_lo, vcc_lo
	s_delay_alu instid0(SALU_CYCLE_1)
	s_and_b32 vcc_lo, exec_lo, s15
	s_mov_b32 s15, 0
	s_cbranch_vccnz .LBB4_1027
; %bb.995:                              ;   in Loop: Header=BB4_107 Depth=1
	s_mov_b32 s15, -1
	s_and_saveexec_b32 s16, s10
	s_cbranch_execz .LBB4_997
; %bb.996:                              ;   in Loop: Header=BB4_107 Depth=1
	ds_load_b32 v1, v0 offset:720
	s_waitcnt lgkmcnt(0)
	v_and_b32_e32 v1, 15, v1
	s_delay_alu instid0(VALU_DEP_1)
	v_cmp_eq_u32_e32 vcc_lo, 0, v1
	s_or_not1_b32 s15, vcc_lo, exec_lo
.LBB4_997:                              ;   in Loop: Header=BB4_107 Depth=1
	s_or_b32 exec_lo, exec_lo, s16
	s_and_saveexec_b32 s16, s6
	s_cbranch_execz .LBB4_999
; %bb.998:                              ;   in Loop: Header=BB4_107 Depth=1
	ds_load_b32 v1, v0 offset:784
	s_waitcnt lgkmcnt(0)
	v_and_b32_e32 v1, 15, v1
	s_delay_alu instid0(VALU_DEP_1) | instskip(SKIP_3) | instid1(SALU_CYCLE_1)
	v_cmp_eq_u32_e32 vcc_lo, 0, v1
	s_and_b32 vcc_lo, s15, vcc_lo
	s_and_not1_b32 s15, s15, exec_lo
	s_and_b32 vcc_lo, vcc_lo, exec_lo
	s_or_b32 s15, s15, vcc_lo
.LBB4_999:                              ;   in Loop: Header=BB4_107 Depth=1
	s_or_b32 exec_lo, exec_lo, s16
	v_cmp_eq_u32_e32 vcc_lo, 0, v10
	s_xor_b32 s15, s15, -1
	v_mov_b32_e32 v49, v0
	v_cndmask_b32_e64 v11, 0, 1, s15
	;;#ASMSTART
	;;#ASMEND
	v_dual_cndmask_b32 v1, 0, v38 :: v_dual_mov_b32 v48, 0
	s_delay_alu instid0(VALU_DEP_2) | instskip(SKIP_1) | instid1(VALU_DEP_2)
	v_cmp_ne_u32_e32 vcc_lo, 0, v11
	s_mov_b32 s15, -1
	v_dual_mov_b32 v102, v68 :: v_dual_mov_b32 v39, v1
	s_cbranch_vccnz .LBB4_1015
; %bb.1000:                             ;   in Loop: Header=BB4_107 Depth=1
	v_ashrrev_i32_e32 v10, 31, v1
	s_mov_b32 s16, exec_lo
	s_delay_alu instid0(VALU_DEP_1) | instskip(NEXT) | instid1(VALU_DEP_1)
	v_lshrrev_b32_e32 v10, 22, v10
	v_add_nc_u32_e32 v10, v1, v10
	s_delay_alu instid0(VALU_DEP_1) | instskip(NEXT) | instid1(VALU_DEP_1)
	v_ashrrev_i32_e32 v39, 10, v10
	v_sub_nc_u32_e32 v100, v39, v68
	s_delay_alu instid0(VALU_DEP_1)
	v_cmpx_lt_i32_e32 0, v100
	s_cbranch_execz .LBB4_1005
; %bb.1001:                             ;   in Loop: Header=BB4_107 Depth=1
	s_cbranch_execnz .LBB4_1394
; %bb.1002:                             ;   in Loop: Header=BB4_107 Depth=1
	ds_load_b64 v[10:11], v0
	v_dual_mov_b32 v12, v34 :: v_dual_mov_b32 v13, v35
	s_mov_b32 s30, 0
.LBB4_1003:                             ;   Parent Loop BB4_107 Depth=1
                                        ; =>  This Inner Loop Header: Depth=2
	s_waitcnt lgkmcnt(0)
	s_delay_alu instid0(VALU_DEP_1) | instskip(NEXT) | instid1(VALU_DEP_2)
	v_add_co_u32 v48, vcc_lo, v10, v12
	v_add_co_ci_u32_e32 v49, vcc_lo, v11, v13, vcc_lo
	v_sub_nc_u32_e32 v100, v100, v54
	v_add_co_u32 v12, s15, v12, v96
	s_clause 0x1
	global_load_b128 v[112:115], v[48:49], off slc dlc
	global_load_b128 v[116:119], v[48:49], off offset:512 slc dlc
	v_add_co_ci_u32_e64 v13, s15, v13, v97, s15
	v_cmp_gt_i32_e32 vcc_lo, 1, v100
	s_waitcnt vmcnt(1)
	global_store_b128 v[48:49], v[112:115], off glc slc dlc
	s_waitcnt vmcnt(0)
	global_store_b128 v[48:49], v[116:119], off offset:512 glc slc dlc
	s_or_b32 s30, vcc_lo, s30
	s_delay_alu instid0(SALU_CYCLE_1)
	s_and_not1_b32 exec_lo, exec_lo, s30
	s_cbranch_execnz .LBB4_1003
; %bb.1004:                             ;   in Loop: Header=BB4_107 Depth=1
	s_or_b32 exec_lo, exec_lo, s30
.LBB4_1005:                             ;   in Loop: Header=BB4_107 Depth=1
	s_delay_alu instid0(SALU_CYCLE_1) | instskip(SKIP_4) | instid1(VALU_DEP_2)
	s_or_b32 exec_lo, exec_lo, s16
	v_lshlrev_b32_e32 v12, 10, v39
	v_mov_b32_e32 v48, 0
	s_mov_b32 s15, 0
	s_mov_b32 s30, exec_lo
                                        ; implicit-def: $vgpr39
                                        ; implicit-def: $vgpr49
                                        ; implicit-def: $vgpr102
	v_cmpx_ne_u32_e64 v1, v12
	s_cbranch_execz .LBB4_1014
; %bb.1006:                             ;   in Loop: Header=BB4_107 Depth=1
	v_lshlrev_b32_e32 v10, 5, v100
	v_sub_nc_u32_e32 v39, v1, v12
	s_mov_b32 s31, exec_lo
	s_delay_alu instid0(VALU_DEP_2) | instskip(NEXT) | instid1(VALU_DEP_2)
	v_sub_nc_u32_e32 v10, v69, v10
	v_ashrrev_i32_e32 v13, 31, v39
	s_delay_alu instid0(VALU_DEP_2) | instskip(NEXT) | instid1(VALU_DEP_2)
	v_ashrrev_i32_e32 v11, 31, v10
	v_lshrrev_b32_e32 v13, 23, v13
	s_delay_alu instid0(VALU_DEP_2) | instskip(NEXT) | instid1(VALU_DEP_2)
	v_lshrrev_b32_e32 v11, 27, v11
	v_add_nc_u32_e32 v49, v39, v13
	s_delay_alu instid0(VALU_DEP_2) | instskip(NEXT) | instid1(VALU_DEP_2)
	v_add_nc_u32_e32 v11, v10, v11
	v_and_b32_e32 v13, 0xfffffe00, v49
	v_ashrrev_i32_e32 v49, 9, v49
	s_delay_alu instid0(VALU_DEP_3) | instskip(NEXT) | instid1(VALU_DEP_3)
	v_and_b32_e32 v48, 0xffffffe0, v11
	v_sub_nc_u32_e32 v101, v39, v13
	s_delay_alu instid0(VALU_DEP_2) | instskip(SKIP_1) | instid1(VALU_DEP_3)
	v_sub_nc_u32_e32 v100, v10, v48
	v_ashrrev_i32_e32 v10, 5, v11
	v_cmp_lt_i32_e32 vcc_lo, 15, v101
	s_delay_alu instid0(VALU_DEP_3) | instskip(NEXT) | instid1(VALU_DEP_1)
	v_lshlrev_b32_e32 v11, 4, v100
	v_lshl_add_u32 v48, v10, 9, v11
	v_add_co_ci_u32_e64 v11, s15, 0, v49, vcc_lo
	s_delay_alu instid0(VALU_DEP_2) | instskip(NEXT) | instid1(VALU_DEP_2)
	v_sub_nc_u32_e32 v39, v39, v48
	v_sub_nc_u32_e32 v103, v11, v10
	s_delay_alu instid0(VALU_DEP_2)
	v_cmpx_lt_i32_e32 15, v39
	s_cbranch_execz .LBB4_1011
; %bb.1007:                             ;   in Loop: Header=BB4_107 Depth=1
	s_cbranch_execnz .LBB4_1487
; %bb.1008:                             ;   in Loop: Header=BB4_107 Depth=1
	ds_load_b64 v[10:11], v0
	v_add_nc_u32_e32 v48, v48, v12
	s_mov_b32 s34, 0
	s_delay_alu instid0(VALU_DEP_1)
	v_ashrrev_i32_e32 v49, 31, v48
.LBB4_1009:                             ;   Parent Loop BB4_107 Depth=1
                                        ; =>  This Inner Loop Header: Depth=2
	s_waitcnt lgkmcnt(0)
	v_add_co_u32 v116, s15, v10, v48
	s_delay_alu instid0(VALU_DEP_1)
	v_add_co_ci_u32_e64 v117, s15, v11, v49, s15
	v_sub_nc_u32_e32 v39, v39, v65
	v_add_co_u32 v48, s16, v48, v80
	global_load_b128 v[112:115], v[116:117], off slc dlc
	v_sub_nc_u32_e32 v103, v103, v54
	v_cmp_gt_i32_e64 s15, 16, v39
	v_add_co_ci_u32_e64 v49, s16, v49, v81, s16
	s_delay_alu instid0(VALU_DEP_2)
	s_or_b32 s34, s15, s34
	s_waitcnt vmcnt(0)
	global_store_b128 v[116:117], v[112:115], off glc slc dlc
	s_and_not1_b32 exec_lo, exec_lo, s34
	s_cbranch_execnz .LBB4_1009
; %bb.1010:                             ;   in Loop: Header=BB4_107 Depth=1
	s_or_b32 exec_lo, exec_lo, s34
.LBB4_1011:                             ;   in Loop: Header=BB4_107 Depth=1
	s_delay_alu instid0(SALU_CYCLE_1) | instskip(SKIP_3) | instid1(VALU_DEP_1)
	s_or_b32 exec_lo, exec_lo, s31
	v_and_b32_e32 v10, 15, v1
	s_mov_b32 s16, 0
	s_mov_b32 s31, exec_lo
                                        ; implicit-def: $vgpr49
                                        ; implicit-def: $vgpr102
	v_dual_mov_b32 v48, 0 :: v_dual_cndmask_b32 v39, v101, v10
	s_delay_alu instid0(VALU_DEP_1)
	v_cmpx_ne_u32_e32 0, v39
; %bb.1012:                             ;   in Loop: Header=BB4_107 Depth=1
	v_cmp_lt_i32_e64 s15, 0, v103
	v_sub_nc_u32_e32 v10, v101, v10
	s_mov_b32 s16, exec_lo
	s_delay_alu instid0(VALU_DEP_2) | instskip(NEXT) | instid1(VALU_DEP_1)
	v_cndmask_b32_e64 v11, 0, v54, s15
	v_sub_nc_u32_e32 v11, v11, v103
	s_delay_alu instid0(VALU_DEP_1) | instskip(NEXT) | instid1(VALU_DEP_1)
	v_lshl_add_u32 v49, v11, 5, v100
	v_ashrrev_i32_e32 v11, 31, v49
	s_delay_alu instid0(VALU_DEP_1) | instskip(NEXT) | instid1(VALU_DEP_1)
	v_lshrrev_b32_e32 v11, 27, v11
	v_dual_cndmask_b32 v10, 0, v10 :: v_dual_add_nc_u32 v11, v49, v11
	s_delay_alu instid0(VALU_DEP_1) | instskip(NEXT) | instid1(VALU_DEP_2)
	v_add3_u32 v48, v13, v12, v10
	v_ashrrev_i32_e32 v102, 5, v11
; %bb.1013:                             ;   in Loop: Header=BB4_107 Depth=1
	s_or_b32 exec_lo, exec_lo, s31
	s_delay_alu instid0(SALU_CYCLE_1)
	s_and_b32 s15, s16, exec_lo
.LBB4_1014:                             ;   in Loop: Header=BB4_107 Depth=1
	s_or_b32 exec_lo, exec_lo, s30
.LBB4_1015:                             ;   in Loop: Header=BB4_107 Depth=1
	s_and_saveexec_b32 s16, s15
	s_cbranch_execz .LBB4_1026
; %bb.1016:                             ;   in Loop: Header=BB4_107 Depth=1
	s_delay_alu instid0(VALU_DEP_1) | instskip(SKIP_1) | instid1(VALU_DEP_1)
	v_ashrrev_i32_e32 v10, 31, v39
	s_mov_b32 s15, exec_lo
	v_lshrrev_b32_e32 v10, 24, v10
	s_delay_alu instid0(VALU_DEP_1) | instskip(NEXT) | instid1(VALU_DEP_1)
	v_add_nc_u32_e32 v10, v39, v10
	v_ashrrev_i32_e32 v101, 8, v10
	s_delay_alu instid0(VALU_DEP_1) | instskip(NEXT) | instid1(VALU_DEP_1)
	v_sub_nc_u32_e32 v100, v101, v102
	v_cmpx_lt_i32_e32 0, v100
	s_cbranch_execz .LBB4_1021
; %bb.1017:                             ;   in Loop: Header=BB4_107 Depth=1
	s_cbranch_execnz .LBB4_1382
; %bb.1018:                             ;   in Loop: Header=BB4_107 Depth=1
	v_ashrrev_i32_e32 v10, 31, v49
	s_mov_b32 s30, 0
	s_delay_alu instid0(VALU_DEP_1) | instskip(NEXT) | instid1(VALU_DEP_1)
	v_lshrrev_b32_e32 v10, 27, v10
	v_add_nc_u32_e32 v12, v49, v10
	ds_load_b64 v[10:11], v0
	v_lshlrev_b32_e32 v13, 8, v102
	v_and_b32_e32 v12, 0xffffffe0, v12
	s_delay_alu instid0(VALU_DEP_1) | instskip(NEXT) | instid1(VALU_DEP_1)
	v_sub_nc_u32_e32 v12, v49, v12
	v_add3_u32 v102, v48, v12, v13
	s_delay_alu instid0(VALU_DEP_1)
	v_ashrrev_i32_e32 v103, 31, v102
	s_waitcnt lgkmcnt(0)
	v_dual_mov_b32 v13, v11 :: v_dual_mov_b32 v12, v10
.LBB4_1019:                             ;   Parent Loop BB4_107 Depth=1
                                        ; =>  This Inner Loop Header: Depth=2
	s_delay_alu instid0(VALU_DEP_1) | instskip(NEXT) | instid1(VALU_DEP_2)
	v_add_co_u32 v112, vcc_lo, v102, v12
	v_add_co_ci_u32_e32 v113, vcc_lo, v103, v13, vcc_lo
	v_sub_nc_u32_e32 v100, v100, v54
	s_clause 0x7
	flat_load_u8 v114, v[112:113] slc dlc
	flat_load_u8 v115, v[112:113] offset:32 slc dlc
	flat_load_u8 v116, v[112:113] offset:64 slc dlc
	;; [unrolled: 1-line block ×7, first 2 shown]
	v_add_co_u32 v112, vcc_lo, v102, v10
	v_add_co_ci_u32_e32 v113, vcc_lo, v103, v11, vcc_lo
	v_add_co_u32 v12, vcc_lo, v12, v83
	v_add_co_ci_u32_e32 v13, vcc_lo, v13, v84, vcc_lo
	;; [unrolled: 2-line block ×3, first 2 shown]
	v_cmp_gt_i32_e32 vcc_lo, 1, v100
	s_waitcnt vmcnt(7) lgkmcnt(7)
	flat_store_b8 v[112:113], v114 glc slc dlc
	s_waitcnt vmcnt(6) lgkmcnt(7)
	flat_store_b8 v[112:113], v115 offset:32 glc slc dlc
	s_waitcnt vmcnt(5) lgkmcnt(7)
	flat_store_b8 v[112:113], v116 offset:64 glc slc dlc
	;; [unrolled: 2-line block ×7, first 2 shown]
	s_or_b32 s30, vcc_lo, s30
	s_delay_alu instid0(SALU_CYCLE_1)
	s_and_not1_b32 exec_lo, exec_lo, s30
	s_cbranch_execnz .LBB4_1019
; %bb.1020:                             ;   in Loop: Header=BB4_107 Depth=1
	s_or_b32 exec_lo, exec_lo, s30
.LBB4_1021:                             ;   in Loop: Header=BB4_107 Depth=1
	s_delay_alu instid0(SALU_CYCLE_1) | instskip(SKIP_1) | instid1(VALU_DEP_1)
	s_or_b32 exec_lo, exec_lo, s15
	v_lshlrev_b32_e32 v10, 8, v101
	v_cmp_ne_u32_e32 vcc_lo, v39, v10
	s_and_b32 exec_lo, exec_lo, vcc_lo
	s_cbranch_execz .LBB4_1026
; %bb.1022:                             ;   in Loop: Header=BB4_107 Depth=1
	v_ashrrev_i32_e32 v11, 31, v49
	v_lshlrev_b32_e32 v12, 5, v100
	s_delay_alu instid0(VALU_DEP_2) | instskip(NEXT) | instid1(VALU_DEP_1)
	v_lshrrev_b32_e32 v11, 27, v11
	v_add_nc_u32_e32 v11, v49, v11
	s_delay_alu instid0(VALU_DEP_1) | instskip(NEXT) | instid1(VALU_DEP_1)
	v_and_b32_e32 v11, 0xffffffe0, v11
	v_sub_nc_u32_e32 v11, v49, v11
	s_delay_alu instid0(VALU_DEP_1) | instskip(NEXT) | instid1(VALU_DEP_1)
	v_sub_nc_u32_e32 v11, v11, v12
	v_add_nc_u32_e32 v13, v10, v11
	s_delay_alu instid0(VALU_DEP_1) | instskip(NEXT) | instid1(VALU_DEP_1)
	v_sub_nc_u32_e32 v12, v39, v13
	v_cmp_lt_i32_e32 vcc_lo, 0, v12
	s_and_b32 exec_lo, exec_lo, vcc_lo
	s_cbranch_execz .LBB4_1026
; %bb.1023:                             ;   in Loop: Header=BB4_107 Depth=1
	s_cbranch_execnz .LBB4_1485
; %bb.1024:                             ;   in Loop: Header=BB4_107 Depth=1
	ds_load_b64 v[10:11], v0
	v_add_nc_u32_e32 v13, v13, v48
	s_mov_b32 s30, 0
	s_delay_alu instid0(VALU_DEP_1)
	v_ashrrev_i32_e32 v39, 31, v13
.LBB4_1025:                             ;   Parent Loop BB4_107 Depth=1
                                        ; =>  This Inner Loop Header: Depth=2
	s_waitcnt lgkmcnt(0)
	v_add_co_u32 v48, vcc_lo, v10, v13
	s_delay_alu instid0(VALU_DEP_2)
	v_add_co_ci_u32_e32 v49, vcc_lo, v11, v39, vcc_lo
	v_sub_nc_u32_e32 v12, v12, v64
	v_add_co_u32 v13, s15, v13, v86
	flat_load_u8 v100, v[48:49] slc dlc
	v_add_co_ci_u32_e64 v39, s15, v39, v87, s15
	v_cmp_gt_i32_e32 vcc_lo, 1, v12
	s_or_b32 s30, vcc_lo, s30
	s_waitcnt vmcnt(0) lgkmcnt(0)
	flat_store_b8 v[48:49], v100 glc slc dlc
	s_and_not1_b32 exec_lo, exec_lo, s30
	s_cbranch_execnz .LBB4_1025
.LBB4_1026:                             ;   in Loop: Header=BB4_107 Depth=1
	s_or_b32 exec_lo, exec_lo, s16
	v_cmp_lt_i32_e64 s15, 0, v1
.LBB4_1027:                             ;   in Loop: Header=BB4_107 Depth=1
	s_and_saveexec_b32 s16, s3
	s_cbranch_execz .LBB4_1049
; %bb.1028:                             ;   in Loop: Header=BB4_107 Depth=1
	s_and_saveexec_b32 vcc_lo, s4
	s_delay_alu instid0(SALU_CYCLE_1)
	s_xor_b32 s30, exec_lo, vcc_lo
	s_cbranch_execz .LBB4_1046
; %bb.1029:                             ;   in Loop: Header=BB4_107 Depth=1
	s_and_saveexec_b32 s31, s5
	s_cbranch_execz .LBB4_1045
; %bb.1030:                             ;   in Loop: Header=BB4_107 Depth=1
	s_mov_b32 s35, exec_lo
	s_mov_b32 s34, exec_lo
	v_mbcnt_lo_u32_b32 v1, s35, 0
	s_waitcnt lgkmcnt(0)
	s_waitcnt_vscnt null, 0x0
	buffer_gl1_inv
	buffer_gl0_inv
	v_cmpx_eq_u32_e32 0, v1
	s_cbranch_execz .LBB4_1032
; %bb.1031:                             ;   in Loop: Header=BB4_107 Depth=1
	s_bcnt1_i32_b32 vcc_lo, s35
	s_delay_alu instid0(SALU_CYCLE_1)
	v_mov_b32_e32 v1, vcc_lo
	ds_add_u64 v0, v[1:2]
	s_cbranch_execnz .LBB4_1469
.LBB4_1032:                             ;   in Loop: Header=BB4_107 Depth=1
	s_or_b32 exec_lo, exec_lo, s34
	s_cbranch_execnz .LBB4_1412
; %bb.1033:                             ;   in Loop: Header=BB4_107 Depth=1
	ds_load_b64 v[10:11], v0
	v_add_co_u32 v26, vcc_lo, v26, v54
	v_add_co_ci_u32_e32 v27, vcc_lo, 0, v27, vcc_lo
	s_mov_b32 s34, exec_lo
	s_waitcnt lgkmcnt(0)
	s_delay_alu instid0(VALU_DEP_1)
	v_cmpx_lt_u64_e64 v[10:11], v[26:27]
	s_cbranch_execz .LBB4_1044
; %bb.1034:                             ;   in Loop: Header=BB4_107 Depth=1
	s_mov_b32 s35, 0
	s_mov_b32 s38, 0
                                        ; implicit-def: $sgpr36
                                        ; implicit-def: $sgpr37
	s_branch .LBB4_1036
.LBB4_1035:                             ;   in Loop: Header=BB4_1036 Depth=2
	s_or_b32 exec_lo, exec_lo, s40
	s_delay_alu instid0(SALU_CYCLE_1) | instskip(NEXT) | instid1(SALU_CYCLE_1)
	s_and_b32 vcc_lo, exec_lo, vcc_lo
	s_or_b32 s35, vcc_lo, s35
	s_and_not1_b32 vcc_lo, s36, exec_lo
	s_and_b32 s36, s37, exec_lo
	s_delay_alu instid0(SALU_CYCLE_1)
	s_or_b32 s36, vcc_lo, s36
	s_and_not1_b32 exec_lo, exec_lo, s35
	s_cbranch_execz .LBB4_1042
.LBB4_1036:                             ;   Parent Loop BB4_107 Depth=1
                                        ; =>  This Inner Loop Header: Depth=2
	s_add_i32 s38, s38, 1
                                        ; implicit-def: $sgpr40
	s_delay_alu instid0(SALU_CYCLE_1) | instskip(SKIP_1) | instid1(SALU_CYCLE_1)
	s_cmpk_lg_i32 s38, 0x2710
	s_cselect_b32 s39, -1, 0
	s_and_b32 vcc_lo, exec_lo, s39
	s_cbranch_vccz .LBB4_1040
.LBB4_1037:                             ;   in Loop: Header=BB4_1036 Depth=2
	s_and_not1_b32 s37, s37, exec_lo
	s_and_b32 s40, s40, exec_lo
	s_mov_b32 vcc_lo, -1
	s_or_b32 s37, s37, s40
	s_and_saveexec_b32 s40, s39
	s_cbranch_execz .LBB4_1035
; %bb.1038:                             ;   in Loop: Header=BB4_1036 Depth=2
	s_sleep 1
	s_cbranch_execnz .LBB4_1511
; %bb.1039:                             ;   in Loop: Header=BB4_1036 Depth=2
	ds_load_b64 v[10:11], v0
	s_and_not1_b32 s37, s37, exec_lo
	s_waitcnt lgkmcnt(0)
	v_cmp_ge_u64_e32 vcc_lo, v[10:11], v[26:27]
	s_or_not1_b32 vcc_lo, vcc_lo, exec_lo
	s_branch .LBB4_1035
.LBB4_1040:                             ;   in Loop: Header=BB4_1036 Depth=2
	s_cbranch_execnz .LBB4_1531
; %bb.1041:                             ;   in Loop: Header=BB4_1036 Depth=2
	ds_load_b64 v[10:11], v0
	s_and_not1_b32 s39, s39, exec_lo
	s_mov_b32 s38, 0
	s_mov_b32 s40, -1
	s_waitcnt lgkmcnt(0)
	flat_load_b32 v1, v[10:11] glc
	s_waitcnt vmcnt(0) lgkmcnt(0)
	buffer_gl1_inv
	buffer_gl0_inv
	v_cmp_eq_u32_e32 vcc_lo, 0, v1
	s_and_b32 vcc_lo, vcc_lo, exec_lo
	s_delay_alu instid0(SALU_CYCLE_1)
	s_or_b32 s39, s39, vcc_lo
	s_branch .LBB4_1037
.LBB4_1042:                             ;   in Loop: Header=BB4_107 Depth=1
	s_or_b32 exec_lo, exec_lo, s35
	s_and_saveexec_b32 vcc_lo, s36
	s_delay_alu instid0(SALU_CYCLE_1)
	s_xor_b32 vcc_lo, exec_lo, vcc_lo
	s_cbranch_execz .LBB4_1044
; %bb.1043:                             ;   in Loop: Header=BB4_107 Depth=1
	ds_store_b32 v0, v98
	s_cbranch_execnz .LBB4_1591
.LBB4_1044:                             ;   in Loop: Header=BB4_107 Depth=1
	s_or_b32 exec_lo, exec_lo, s34
	;;#ASMSTART
	s_wakeup
	;;#ASMEND
.LBB4_1045:                             ;   in Loop: Header=BB4_107 Depth=1
	s_or_b32 exec_lo, exec_lo, s31
.LBB4_1046:                             ;   in Loop: Header=BB4_107 Depth=1
	s_and_not1_saveexec_b32 vcc_lo, s30
	s_cbranch_execz .LBB4_1048
; %bb.1047:                             ;   in Loop: Header=BB4_107 Depth=1
	s_waitcnt lgkmcnt(0)
	s_waitcnt_vscnt null, 0x0
	buffer_gl1_inv
	buffer_gl0_inv
	s_barrier
.LBB4_1048:                             ;   in Loop: Header=BB4_107 Depth=1
	s_or_b32 exec_lo, exec_lo, vcc_lo
.LBB4_1049:                             ;   in Loop: Header=BB4_107 Depth=1
	s_delay_alu instid0(SALU_CYCLE_1) | instskip(SKIP_1) | instid1(SALU_CYCLE_1)
	s_or_b32 exec_lo, exec_lo, s16
                                        ; implicit-def: $vgpr1
	s_and_saveexec_b32 s16, s11
	s_xor_b32 s16, exec_lo, s16
	s_cbranch_execz .LBB4_1053
; %bb.1050:                             ;   in Loop: Header=BB4_107 Depth=1
	v_and_b32_e32 v1, 16, v50
	s_delay_alu instid0(VALU_DEP_1) | instskip(SKIP_2) | instid1(SALU_CYCLE_1)
	v_cmp_ne_u32_e32 vcc_lo, 0, v1
	v_and_b32_e32 v1, 16, v50
	s_and_b32 vcc_lo, vcc_lo, s15
	s_and_saveexec_b32 s15, vcc_lo
	s_cbranch_execz .LBB4_1052
; %bb.1051:                             ;   in Loop: Header=BB4_107 Depth=1
	v_mov_b32_e32 v1, 1
	s_waitcnt lgkmcnt(0)
	s_waitcnt_vscnt null, 0x0
	buffer_gl1_inv
	buffer_gl0_inv
.LBB4_1052:                             ;   in Loop: Header=BB4_107 Depth=1
	s_or_b32 exec_lo, exec_lo, s15
.LBB4_1053:                             ;   in Loop: Header=BB4_107 Depth=1
	s_and_not1_saveexec_b32 s15, s16
	s_cbranch_execz .LBB4_1075
; %bb.1054:                             ;   in Loop: Header=BB4_107 Depth=1
	s_and_saveexec_b32 s16, s4
	s_delay_alu instid0(SALU_CYCLE_1)
	s_xor_b32 s16, exec_lo, s16
	s_cbranch_execz .LBB4_1072
; %bb.1055:                             ;   in Loop: Header=BB4_107 Depth=1
	s_and_saveexec_b32 s30, s5
	s_cbranch_execz .LBB4_1071
; %bb.1056:                             ;   in Loop: Header=BB4_107 Depth=1
	s_mov_b32 s34, exec_lo
	s_mov_b32 s31, exec_lo
	v_mbcnt_lo_u32_b32 v1, s34, 0
	;;#ASMSTART
	s_waitcnt lgkmcnt(0) vmcnt(0)
	;;#ASMEND
	s_delay_alu instid0(VALU_DEP_1)
	v_cmpx_eq_u32_e32 0, v1
	s_cbranch_execz .LBB4_1058
; %bb.1057:                             ;   in Loop: Header=BB4_107 Depth=1
	s_bcnt1_i32_b32 vcc_lo, s34
	s_delay_alu instid0(SALU_CYCLE_1)
	v_mov_b32_e32 v1, vcc_lo
	ds_add_u64 v0, v[1:2]
	s_cbranch_execnz .LBB4_1475
.LBB4_1058:                             ;   in Loop: Header=BB4_107 Depth=1
	s_or_b32 exec_lo, exec_lo, s31
	s_cbranch_execnz .LBB4_1424
; %bb.1059:                             ;   in Loop: Header=BB4_107 Depth=1
	ds_load_b64 v[10:11], v0
	v_add_co_u32 v26, vcc_lo, v26, v54
	v_add_co_ci_u32_e32 v27, vcc_lo, 0, v27, vcc_lo
	s_mov_b32 s31, exec_lo
	s_waitcnt lgkmcnt(0)
	s_delay_alu instid0(VALU_DEP_1)
	v_cmpx_lt_u64_e64 v[10:11], v[26:27]
	s_cbranch_execz .LBB4_1070
; %bb.1060:                             ;   in Loop: Header=BB4_107 Depth=1
	s_mov_b32 s34, 0
	s_mov_b32 s37, 0
                                        ; implicit-def: $sgpr35
                                        ; implicit-def: $sgpr36
	s_branch .LBB4_1062
.LBB4_1061:                             ;   in Loop: Header=BB4_1062 Depth=2
	s_or_b32 exec_lo, exec_lo, s39
	s_delay_alu instid0(SALU_CYCLE_1) | instskip(NEXT) | instid1(SALU_CYCLE_1)
	s_and_b32 vcc_lo, exec_lo, vcc_lo
	s_or_b32 s34, vcc_lo, s34
	s_and_not1_b32 vcc_lo, s35, exec_lo
	s_and_b32 s35, s36, exec_lo
	s_delay_alu instid0(SALU_CYCLE_1)
	s_or_b32 s35, vcc_lo, s35
	s_and_not1_b32 exec_lo, exec_lo, s34
	s_cbranch_execz .LBB4_1068
.LBB4_1062:                             ;   Parent Loop BB4_107 Depth=1
                                        ; =>  This Inner Loop Header: Depth=2
	s_add_i32 s37, s37, 1
                                        ; implicit-def: $sgpr39
	s_delay_alu instid0(SALU_CYCLE_1) | instskip(SKIP_1) | instid1(SALU_CYCLE_1)
	s_cmpk_lg_i32 s37, 0x2710
	s_cselect_b32 s38, -1, 0
	s_and_b32 vcc_lo, exec_lo, s38
	s_cbranch_vccz .LBB4_1066
.LBB4_1063:                             ;   in Loop: Header=BB4_1062 Depth=2
	s_and_not1_b32 s36, s36, exec_lo
	s_and_b32 s39, s39, exec_lo
	s_mov_b32 vcc_lo, -1
	s_or_b32 s36, s36, s39
	s_and_saveexec_b32 s39, s38
	s_cbranch_execz .LBB4_1061
; %bb.1064:                             ;   in Loop: Header=BB4_1062 Depth=2
	s_sleep 1
	s_cbranch_execnz .LBB4_1519
; %bb.1065:                             ;   in Loop: Header=BB4_1062 Depth=2
	ds_load_b64 v[10:11], v0
	s_and_not1_b32 s36, s36, exec_lo
	s_waitcnt lgkmcnt(0)
	v_cmp_ge_u64_e32 vcc_lo, v[10:11], v[26:27]
	s_or_not1_b32 vcc_lo, vcc_lo, exec_lo
	s_branch .LBB4_1061
.LBB4_1066:                             ;   in Loop: Header=BB4_1062 Depth=2
	s_cbranch_execnz .LBB4_1537
; %bb.1067:                             ;   in Loop: Header=BB4_1062 Depth=2
	ds_load_b64 v[10:11], v0
	s_and_not1_b32 s38, s38, exec_lo
	s_mov_b32 s37, 0
	s_mov_b32 s39, -1
	s_waitcnt lgkmcnt(0)
	s_waitcnt_vscnt null, 0x0
	flat_load_b32 v1, v[10:11] glc
	s_waitcnt vmcnt(0) lgkmcnt(0)
	buffer_gl1_inv
	buffer_gl0_inv
	v_cmp_eq_u32_e32 vcc_lo, 0, v1
	s_and_b32 vcc_lo, vcc_lo, exec_lo
	s_delay_alu instid0(SALU_CYCLE_1)
	s_or_b32 s38, s38, vcc_lo
	s_branch .LBB4_1063
.LBB4_1068:                             ;   in Loop: Header=BB4_107 Depth=1
	s_or_b32 exec_lo, exec_lo, s34
	s_and_saveexec_b32 vcc_lo, s35
	s_delay_alu instid0(SALU_CYCLE_1)
	s_xor_b32 vcc_lo, exec_lo, vcc_lo
	s_cbranch_execz .LBB4_1070
; %bb.1069:                             ;   in Loop: Header=BB4_107 Depth=1
	ds_store_b32 v0, v98
	s_cbranch_execnz .LBB4_1593
.LBB4_1070:                             ;   in Loop: Header=BB4_107 Depth=1
	s_or_b32 exec_lo, exec_lo, s31
	;;#ASMSTART
	s_wakeup
	;;#ASMEND
.LBB4_1071:                             ;   in Loop: Header=BB4_107 Depth=1
	s_or_b32 exec_lo, exec_lo, s30
.LBB4_1072:                             ;   in Loop: Header=BB4_107 Depth=1
	s_and_not1_saveexec_b32 s16, s16
	s_cbranch_execz .LBB4_1074
; %bb.1073:                             ;   in Loop: Header=BB4_107 Depth=1
	;;#ASMSTART
	s_waitcnt lgkmcnt(0) vmcnt(0)
	;;#ASMEND
	s_waitcnt lgkmcnt(0)
	s_waitcnt_vscnt null, 0x0
	s_barrier
.LBB4_1074:                             ;   in Loop: Header=BB4_107 Depth=1
	s_or_b32 exec_lo, exec_lo, s16
	v_and_b32_e32 v1, 16, v50
.LBB4_1075:                             ;   in Loop: Header=BB4_107 Depth=1
	s_or_b32 exec_lo, exec_lo, s15
	s_delay_alu instid0(SALU_CYCLE_1) | instskip(NEXT) | instid1(VALU_DEP_1)
	s_mov_b32 s15, exec_lo
	v_cmpx_ne_u32_e32 0, v1
	s_cbranch_execz .LBB4_1079
; %bb.1076:                             ;   in Loop: Header=BB4_107 Depth=1
	s_and_saveexec_b32 s16, s13
	s_cbranch_execz .LBB4_1078
; %bb.1077:                             ;   in Loop: Header=BB4_107 Depth=1
	s_waitcnt lgkmcnt(0)
	s_waitcnt_vscnt null, 0x0
	flat_store_b32 v[24:25], v98
.LBB4_1078:                             ;   in Loop: Header=BB4_107 Depth=1
	s_or_b32 exec_lo, exec_lo, s16
	v_add_co_u32 v8, vcc_lo, v8, 1
	v_add_co_ci_u32_e32 v9, vcc_lo, 0, v9, vcc_lo
	s_waitcnt lgkmcnt(0)
	s_waitcnt_vscnt null, 0x0
	flat_store_b64 v[20:21], v[8:9]
.LBB4_1079:                             ;   in Loop: Header=BB4_107 Depth=1
	s_or_b32 exec_lo, exec_lo, s15
	v_mov_b32_e32 v12, v38
.LBB4_1080:                             ;   in Loop: Header=BB4_107 Depth=1
	s_or_b32 exec_lo, exec_lo, vcc_hi
	s_mov_b32 s16, s18
	s_mov_b32 vcc_lo, s17
	s_and_saveexec_b32 s15, s14
	s_cbranch_execz .LBB4_1157
; %bb.1081:                             ;   in Loop: Header=BB4_107 Depth=1
	v_and_b32_e32 v1, 8, v50
	s_mov_b32 s16, -1
	s_mov_b32 s14, exec_lo
	s_delay_alu instid0(VALU_DEP_1)
	v_cmpx_ne_u32_e32 0, v1
	s_cbranch_execz .LBB4_1095
; %bb.1082:                             ;   in Loop: Header=BB4_107 Depth=1
	v_add_co_u32 v48, vcc_lo, v28, 8
	v_add_co_ci_u32_e32 v49, vcc_lo, 0, v29, vcc_lo
	v_add_co_u32 v10, vcc_lo, v8, 1
	v_add_co_ci_u32_e32 v11, vcc_lo, 0, v9, vcc_lo
	v_mov_b32_e32 v1, 1
	s_mov_b32 s16, exec_lo
	s_delay_alu instid0(VALU_DEP_2)
	v_cmpx_lt_u64_e64 v[48:49], v[10:11]
	s_cbranch_execz .LBB4_1094
; %bb.1083:                             ;   in Loop: Header=BB4_107 Depth=1
	v_mov_b32_e32 v1, 0
	s_mov_b32 vcc_hi, 0
                                        ; implicit-def: $sgpr30
	s_branch .LBB4_1087
.LBB4_1084:                             ;   in Loop: Header=BB4_1087 Depth=2
	s_or_b32 exec_lo, exec_lo, s36
	v_mov_b32_e32 v13, 0
	s_or_not1_b32 s35, s35, exec_lo
.LBB4_1085:                             ;   in Loop: Header=BB4_1087 Depth=2
	s_or_b32 exec_lo, exec_lo, s34
	s_delay_alu instid0(VALU_DEP_1) | instskip(SKIP_2) | instid1(SALU_CYCLE_1)
	v_mov_b32_e32 v1, v13
	s_and_not1_b32 vcc_lo, s30, exec_lo
	s_and_b32 s30, s35, exec_lo
	s_or_b32 s30, vcc_lo, s30
.LBB4_1086:                             ;   in Loop: Header=BB4_1087 Depth=2
	s_or_b32 exec_lo, exec_lo, s31
	s_waitcnt vmcnt(0) lgkmcnt(0)
	v_add_co_u32 v48, vcc_lo, v28, 8
	v_add_co_ci_u32_e32 v49, vcc_lo, 0, v29, vcc_lo
	s_xor_b32 s31, s30, -1
	s_delay_alu instid0(VALU_DEP_1) | instskip(SKIP_1) | instid1(SALU_CYCLE_1)
	v_cmp_ge_u64_e32 vcc_lo, v[48:49], v[10:11]
	s_or_b32 vcc_lo, s31, vcc_lo
	s_and_b32 vcc_lo, exec_lo, vcc_lo
	s_delay_alu instid0(SALU_CYCLE_1) | instskip(NEXT) | instid1(SALU_CYCLE_1)
	s_or_b32 vcc_hi, vcc_lo, vcc_hi
	s_and_not1_b32 exec_lo, exec_lo, vcc_hi
	s_cbranch_execz .LBB4_1093
.LBB4_1087:                             ;   Parent Loop BB4_107 Depth=1
                                        ; =>  This Inner Loop Header: Depth=2
	s_sleep 1
	flat_load_b64 v[28:29], v[20:21] glc
	v_and_b32_e32 v13, 64, v50
	s_and_not1_b32 s30, s30, exec_lo
	s_mov_b32 s31, exec_lo
	s_delay_alu instid0(VALU_DEP_1)
	v_cmpx_eq_u32_e32 0, v13
	s_cbranch_execz .LBB4_1086
; %bb.1088:                             ;   in Loop: Header=BB4_1087 Depth=2
	v_add_nc_u32_e32 v13, 1, v1
	s_mov_b32 s35, -1
	s_mov_b32 s34, exec_lo
	v_cmpx_lt_i32_e32 0x270e, v1
	s_cbranch_execz .LBB4_1085
; %bb.1089:                             ;   in Loop: Header=BB4_1087 Depth=2
	s_cbranch_execnz .LBB4_1266
; %bb.1090:                             ;   in Loop: Header=BB4_1087 Depth=2
	ds_load_b64 v[48:49], v0
	s_mov_b32 s36, exec_lo
	s_waitcnt vmcnt(0) lgkmcnt(0)
	s_waitcnt_vscnt null, 0x0
	flat_load_b32 v1, v[48:49] glc
	s_waitcnt vmcnt(0) lgkmcnt(0)
	buffer_gl1_inv
	buffer_gl0_inv
	v_cmpx_ne_u32_e32 0, v1
	s_cbranch_execz .LBB4_1084
; %bb.1091:                             ;   in Loop: Header=BB4_1087 Depth=2
	ds_store_b32 v0, v1
	s_cbranch_execnz .LBB4_1312
; %bb.1092:                             ;   in Loop: Header=BB4_1087 Depth=2
	v_or_b32_e32 v50, 64, v50
	s_xor_b32 s35, exec_lo, -1
	s_branch .LBB4_1084
.LBB4_1093:                             ;   in Loop: Header=BB4_107 Depth=1
	s_or_b32 exec_lo, exec_lo, vcc_hi
	v_and_b32_e32 v1, 8, v50
.LBB4_1094:                             ;   in Loop: Header=BB4_107 Depth=1
	s_or_b32 exec_lo, exec_lo, s16
	s_delay_alu instid0(VALU_DEP_1)
	v_cmp_eq_u32_e32 vcc_lo, 0, v1
	;;#ASMSTART
	s_wakeup
	;;#ASMEND
	s_or_not1_b32 s16, vcc_lo, exec_lo
.LBB4_1095:                             ;   in Loop: Header=BB4_107 Depth=1
	s_or_b32 exec_lo, exec_lo, s14
	v_sub_nc_u32_e32 v1, v99, v12
	s_xor_b32 s14, s16, -1
	s_delay_alu instid0(VALU_DEP_1)
	v_min_i32_e32 v10, v38, v1
	s_and_saveexec_b32 s16, s14
	s_cbranch_execz .LBB4_1105
; %bb.1096:                             ;   in Loop: Header=BB4_107 Depth=1
	v_and_b32_e32 v1, 0x100, v50
	s_mov_b32 s14, -1
                                        ; implicit-def: $vgpr11_vgpr12
	s_delay_alu instid0(VALU_DEP_1)
	v_cmp_ne_u32_e32 vcc_lo, 0, v1
	v_and_b32_e32 v1, 7, v8
	s_and_saveexec_b32 vcc_hi, vcc_lo
	s_cbranch_execz .LBB4_1100
; %bb.1097:                             ;   in Loop: Header=BB4_107 Depth=1
	s_delay_alu instid0(VALU_DEP_1)
	v_mad_u64_u32 v[38:39], null, v1, 24, v[6:7]
	v_ashrrev_i32_e32 v11, 31, v10
	flat_load_b32 v12, v[38:39]
	flat_store_b64 v[38:39], v[10:11] offset:8
	s_waitcnt vmcnt(0) lgkmcnt(1)
	v_cmp_ne_u32_e32 vcc_lo, 1, v12
	v_cmp_eq_u32_e64 s14, 1, v12
                                        ; implicit-def: $vgpr11_vgpr12
	s_delay_alu instid0(VALU_DEP_1)
	s_and_saveexec_b32 s30, s14
	s_cbranch_execz .LBB4_1099
; %bb.1098:                             ;   in Loop: Header=BB4_107 Depth=1
	flat_load_b32 v11, v[38:39] offset:4 glc
	s_waitcnt vmcnt(0) lgkmcnt(0)
	v_ashrrev_i32_e32 v12, 31, v11
.LBB4_1099:                             ;   in Loop: Header=BB4_107 Depth=1
	s_or_b32 exec_lo, exec_lo, s30
	s_delay_alu instid0(SALU_CYCLE_1)
	s_or_not1_b32 s14, vcc_lo, exec_lo
.LBB4_1100:                             ;   in Loop: Header=BB4_107 Depth=1
	s_or_b32 exec_lo, exec_lo, vcc_hi
	s_and_saveexec_b32 vcc_lo, s14
; %bb.1101:                             ;   in Loop: Header=BB4_107 Depth=1
	v_mad_i64_i32 v[11:12], null, v1, v51, 0
; %bb.1102:                             ;   in Loop: Header=BB4_107 Depth=1
	s_or_b32 exec_lo, exec_lo, vcc_lo
	s_delay_alu instid0(VALU_DEP_1) | instskip(SKIP_1) | instid1(VALU_DEP_3)
	v_add_co_u32 v11, vcc_lo, v22, v11
	v_and_b32_e32 v1, 0x2000, v50
	v_add_co_ci_u32_e32 v12, vcc_lo, v23, v12, vcc_lo
	s_mov_b32 s14, exec_lo
	ds_store_b64 v0, v[11:12] offset:784
	v_cmpx_ne_u32_e32 0, v1
	s_cbranch_execz .LBB4_1104
; %bb.1103:                             ;   in Loop: Header=BB4_107 Depth=1
	ds_load_b64 v[11:12], v0 offset:584
	s_waitcnt lgkmcnt(0)
	v_add_co_u32 v11, vcc_lo, v11, 1
	v_add_co_ci_u32_e32 v12, vcc_lo, 0, v12, vcc_lo
	ds_store_b64 v0, v[11:12] offset:584
.LBB4_1104:                             ;   in Loop: Header=BB4_107 Depth=1
	s_or_b32 exec_lo, exec_lo, s14
	v_add_co_u32 v8, vcc_lo, v8, 1
	v_add_co_ci_u32_e32 v9, vcc_lo, 0, v9, vcc_lo
.LBB4_1105:                             ;   in Loop: Header=BB4_107 Depth=1
	s_or_b32 exec_lo, exec_lo, s16
	s_and_saveexec_b32 s14, s3
	s_cbranch_execz .LBB4_1127
; %bb.1106:                             ;   in Loop: Header=BB4_107 Depth=1
	s_and_saveexec_b32 s16, s4
	s_delay_alu instid0(SALU_CYCLE_1)
	s_xor_b32 s16, exec_lo, s16
	s_cbranch_execz .LBB4_1124
; %bb.1107:                             ;   in Loop: Header=BB4_107 Depth=1
	s_and_saveexec_b32 vcc_hi, s5
	s_cbranch_execz .LBB4_1123
; %bb.1108:                             ;   in Loop: Header=BB4_107 Depth=1
	s_mov_b32 s31, exec_lo
	s_mov_b32 s30, exec_lo
	v_mbcnt_lo_u32_b32 v1, s31, 0
	s_waitcnt lgkmcnt(0)
	s_waitcnt_vscnt null, 0x0
	buffer_gl1_inv
	buffer_gl0_inv
	v_cmpx_eq_u32_e32 0, v1
	s_cbranch_execz .LBB4_1110
; %bb.1109:                             ;   in Loop: Header=BB4_107 Depth=1
	s_bcnt1_i32_b32 vcc_lo, s31
	s_delay_alu instid0(SALU_CYCLE_1)
	v_mov_b32_e32 v1, vcc_lo
	ds_add_u64 v0, v[1:2]
	s_cbranch_execnz .LBB4_1338
.LBB4_1110:                             ;   in Loop: Header=BB4_107 Depth=1
	s_or_b32 exec_lo, exec_lo, s30
	s_cbranch_execnz .LBB4_1314
; %bb.1111:                             ;   in Loop: Header=BB4_107 Depth=1
	ds_load_b64 v[11:12], v0
	v_add_co_u32 v26, vcc_lo, v26, v54
	v_add_co_ci_u32_e32 v27, vcc_lo, 0, v27, vcc_lo
	s_mov_b32 s30, exec_lo
	s_waitcnt lgkmcnt(0)
	s_delay_alu instid0(VALU_DEP_1)
	v_cmpx_lt_u64_e64 v[11:12], v[26:27]
	s_cbranch_execz .LBB4_1122
; %bb.1112:                             ;   in Loop: Header=BB4_107 Depth=1
	s_mov_b32 s31, 0
	s_mov_b32 s36, 0
                                        ; implicit-def: $sgpr34
                                        ; implicit-def: $sgpr35
	s_branch .LBB4_1114
.LBB4_1113:                             ;   in Loop: Header=BB4_1114 Depth=2
	s_or_b32 exec_lo, exec_lo, s38
	s_delay_alu instid0(SALU_CYCLE_1) | instskip(NEXT) | instid1(SALU_CYCLE_1)
	s_and_b32 vcc_lo, exec_lo, vcc_lo
	s_or_b32 s31, vcc_lo, s31
	s_and_not1_b32 vcc_lo, s34, exec_lo
	s_and_b32 s34, s35, exec_lo
	s_delay_alu instid0(SALU_CYCLE_1)
	s_or_b32 s34, vcc_lo, s34
	s_and_not1_b32 exec_lo, exec_lo, s31
	s_cbranch_execz .LBB4_1120
.LBB4_1114:                             ;   Parent Loop BB4_107 Depth=1
                                        ; =>  This Inner Loop Header: Depth=2
	s_add_i32 s36, s36, 1
                                        ; implicit-def: $sgpr38
	s_delay_alu instid0(SALU_CYCLE_1) | instskip(SKIP_1) | instid1(SALU_CYCLE_1)
	s_cmpk_lg_i32 s36, 0x2710
	s_cselect_b32 s37, -1, 0
	s_and_b32 vcc_lo, exec_lo, s37
	s_cbranch_vccz .LBB4_1118
.LBB4_1115:                             ;   in Loop: Header=BB4_1114 Depth=2
	s_and_not1_b32 s35, s35, exec_lo
	s_and_b32 s38, s38, exec_lo
	s_mov_b32 vcc_lo, -1
	s_or_b32 s35, s35, s38
	s_and_saveexec_b32 s38, s37
	s_cbranch_execz .LBB4_1113
; %bb.1116:                             ;   in Loop: Header=BB4_1114 Depth=2
	s_sleep 1
	s_cbranch_execnz .LBB4_1402
; %bb.1117:                             ;   in Loop: Header=BB4_1114 Depth=2
	ds_load_b64 v[11:12], v0
	s_and_not1_b32 s35, s35, exec_lo
	s_waitcnt lgkmcnt(0)
	v_cmp_ge_u64_e32 vcc_lo, v[11:12], v[26:27]
	s_or_not1_b32 vcc_lo, vcc_lo, exec_lo
	s_branch .LBB4_1113
.LBB4_1118:                             ;   in Loop: Header=BB4_1114 Depth=2
	s_cbranch_execnz .LBB4_1428
; %bb.1119:                             ;   in Loop: Header=BB4_1114 Depth=2
	ds_load_b64 v[11:12], v0
	s_and_not1_b32 s37, s37, exec_lo
	s_mov_b32 s36, 0
	s_mov_b32 s38, -1
	s_waitcnt lgkmcnt(0)
	flat_load_b32 v1, v[11:12] glc
	s_waitcnt vmcnt(0) lgkmcnt(0)
	buffer_gl1_inv
	buffer_gl0_inv
	v_cmp_eq_u32_e32 vcc_lo, 0, v1
	s_and_b32 vcc_lo, vcc_lo, exec_lo
	s_delay_alu instid0(SALU_CYCLE_1)
	s_or_b32 s37, s37, vcc_lo
	s_branch .LBB4_1115
.LBB4_1120:                             ;   in Loop: Header=BB4_107 Depth=1
	s_or_b32 exec_lo, exec_lo, s31
	s_and_saveexec_b32 vcc_lo, s34
	s_delay_alu instid0(SALU_CYCLE_1)
	s_xor_b32 vcc_lo, exec_lo, vcc_lo
	s_cbranch_execz .LBB4_1122
; %bb.1121:                             ;   in Loop: Header=BB4_107 Depth=1
	ds_store_b32 v0, v98
	s_cbranch_execnz .LBB4_1561
.LBB4_1122:                             ;   in Loop: Header=BB4_107 Depth=1
	s_or_b32 exec_lo, exec_lo, s30
	;;#ASMSTART
	s_wakeup
	;;#ASMEND
.LBB4_1123:                             ;   in Loop: Header=BB4_107 Depth=1
	s_or_b32 exec_lo, exec_lo, vcc_hi
.LBB4_1124:                             ;   in Loop: Header=BB4_107 Depth=1
	s_and_not1_saveexec_b32 s16, s16
	s_cbranch_execz .LBB4_1126
; %bb.1125:                             ;   in Loop: Header=BB4_107 Depth=1
	s_waitcnt lgkmcnt(0)
	s_waitcnt_vscnt null, 0x0
	buffer_gl1_inv
	buffer_gl0_inv
	s_barrier
.LBB4_1126:                             ;   in Loop: Header=BB4_107 Depth=1
	s_or_b32 exec_lo, exec_lo, s16
.LBB4_1127:                             ;   in Loop: Header=BB4_107 Depth=1
	s_delay_alu instid0(SALU_CYCLE_1) | instskip(SKIP_1) | instid1(SALU_CYCLE_1)
	s_or_b32 exec_lo, exec_lo, s14
                                        ; implicit-def: $vgpr1
	s_and_saveexec_b32 s14, s25
	s_xor_b32 s14, exec_lo, s14
	s_cbranch_execz .LBB4_1149
; %bb.1128:                             ;   in Loop: Header=BB4_107 Depth=1
	s_and_saveexec_b32 s16, s4
	s_delay_alu instid0(SALU_CYCLE_1)
	s_xor_b32 s16, exec_lo, s16
	s_cbranch_execz .LBB4_1146
; %bb.1129:                             ;   in Loop: Header=BB4_107 Depth=1
	s_and_saveexec_b32 vcc_hi, s5
	s_cbranch_execz .LBB4_1145
; %bb.1130:                             ;   in Loop: Header=BB4_107 Depth=1
	s_mov_b32 s31, exec_lo
	s_mov_b32 s30, exec_lo
	v_mbcnt_lo_u32_b32 v1, s31, 0
	;;#ASMSTART
	s_waitcnt lgkmcnt(0) vmcnt(0)
	;;#ASMEND
	s_delay_alu instid0(VALU_DEP_1)
	v_cmpx_eq_u32_e32 0, v1
	s_cbranch_execz .LBB4_1132
; %bb.1131:                             ;   in Loop: Header=BB4_107 Depth=1
	s_bcnt1_i32_b32 vcc_lo, s31
	s_delay_alu instid0(SALU_CYCLE_1)
	v_mov_b32_e32 v1, vcc_lo
	ds_add_u64 v0, v[1:2]
	s_cbranch_execnz .LBB4_1348
.LBB4_1132:                             ;   in Loop: Header=BB4_107 Depth=1
	s_or_b32 exec_lo, exec_lo, s30
	s_cbranch_execnz .LBB4_1328
; %bb.1133:                             ;   in Loop: Header=BB4_107 Depth=1
	ds_load_b64 v[10:11], v0
	v_add_co_u32 v26, vcc_lo, v26, v54
	v_add_co_ci_u32_e32 v27, vcc_lo, 0, v27, vcc_lo
	s_mov_b32 s30, exec_lo
	s_waitcnt lgkmcnt(0)
	s_delay_alu instid0(VALU_DEP_1)
	v_cmpx_lt_u64_e64 v[10:11], v[26:27]
	s_cbranch_execz .LBB4_1144
; %bb.1134:                             ;   in Loop: Header=BB4_107 Depth=1
	s_mov_b32 s31, 0
	s_mov_b32 s36, 0
                                        ; implicit-def: $sgpr34
                                        ; implicit-def: $sgpr35
	s_branch .LBB4_1136
.LBB4_1135:                             ;   in Loop: Header=BB4_1136 Depth=2
	s_or_b32 exec_lo, exec_lo, s38
	s_delay_alu instid0(SALU_CYCLE_1) | instskip(NEXT) | instid1(SALU_CYCLE_1)
	s_and_b32 vcc_lo, exec_lo, vcc_lo
	s_or_b32 s31, vcc_lo, s31
	s_and_not1_b32 vcc_lo, s34, exec_lo
	s_and_b32 s34, s35, exec_lo
	s_delay_alu instid0(SALU_CYCLE_1)
	s_or_b32 s34, vcc_lo, s34
	s_and_not1_b32 exec_lo, exec_lo, s31
	s_cbranch_execz .LBB4_1142
.LBB4_1136:                             ;   Parent Loop BB4_107 Depth=1
                                        ; =>  This Inner Loop Header: Depth=2
	s_add_i32 s36, s36, 1
                                        ; implicit-def: $sgpr38
	s_delay_alu instid0(SALU_CYCLE_1) | instskip(SKIP_1) | instid1(SALU_CYCLE_1)
	s_cmpk_lg_i32 s36, 0x2710
	s_cselect_b32 s37, -1, 0
	s_and_b32 vcc_lo, exec_lo, s37
	s_cbranch_vccz .LBB4_1140
.LBB4_1137:                             ;   in Loop: Header=BB4_1136 Depth=2
	s_and_not1_b32 s35, s35, exec_lo
	s_and_b32 s38, s38, exec_lo
	s_mov_b32 vcc_lo, -1
	s_or_b32 s35, s35, s38
	s_and_saveexec_b32 s38, s37
	s_cbranch_execz .LBB4_1135
; %bb.1138:                             ;   in Loop: Header=BB4_1136 Depth=2
	s_sleep 1
	s_cbranch_execnz .LBB4_1416
; %bb.1139:                             ;   in Loop: Header=BB4_1136 Depth=2
	ds_load_b64 v[10:11], v0
	s_and_not1_b32 s35, s35, exec_lo
	s_waitcnt lgkmcnt(0)
	v_cmp_ge_u64_e32 vcc_lo, v[10:11], v[26:27]
	s_or_not1_b32 vcc_lo, vcc_lo, exec_lo
	s_branch .LBB4_1135
.LBB4_1140:                             ;   in Loop: Header=BB4_1136 Depth=2
	s_cbranch_execnz .LBB4_1449
; %bb.1141:                             ;   in Loop: Header=BB4_1136 Depth=2
	ds_load_b64 v[10:11], v0
	s_and_not1_b32 s37, s37, exec_lo
	s_mov_b32 s36, 0
	s_mov_b32 s38, -1
	s_waitcnt lgkmcnt(0)
	s_waitcnt_vscnt null, 0x0
	flat_load_b32 v1, v[10:11] glc
	s_waitcnt vmcnt(0) lgkmcnt(0)
	buffer_gl1_inv
	buffer_gl0_inv
	v_cmp_eq_u32_e32 vcc_lo, 0, v1
	s_and_b32 vcc_lo, vcc_lo, exec_lo
	s_delay_alu instid0(SALU_CYCLE_1)
	s_or_b32 s37, s37, vcc_lo
	s_branch .LBB4_1137
.LBB4_1142:                             ;   in Loop: Header=BB4_107 Depth=1
	s_or_b32 exec_lo, exec_lo, s31
	s_and_saveexec_b32 vcc_lo, s34
	s_delay_alu instid0(SALU_CYCLE_1)
	s_xor_b32 vcc_lo, exec_lo, vcc_lo
	s_cbranch_execz .LBB4_1144
; %bb.1143:                             ;   in Loop: Header=BB4_107 Depth=1
	ds_store_b32 v0, v98
	s_cbranch_execnz .LBB4_1569
.LBB4_1144:                             ;   in Loop: Header=BB4_107 Depth=1
	s_or_b32 exec_lo, exec_lo, s30
	;;#ASMSTART
	s_wakeup
	;;#ASMEND
.LBB4_1145:                             ;   in Loop: Header=BB4_107 Depth=1
	s_or_b32 exec_lo, exec_lo, vcc_hi
.LBB4_1146:                             ;   in Loop: Header=BB4_107 Depth=1
	s_and_not1_saveexec_b32 s16, s16
	s_cbranch_execz .LBB4_1148
; %bb.1147:                             ;   in Loop: Header=BB4_107 Depth=1
	;;#ASMSTART
	s_waitcnt lgkmcnt(0) vmcnt(0)
	;;#ASMEND
	s_waitcnt lgkmcnt(0)
	s_waitcnt_vscnt null, 0x0
	s_barrier
.LBB4_1148:                             ;   in Loop: Header=BB4_107 Depth=1
	s_or_b32 exec_lo, exec_lo, s16
	v_and_b32_e32 v1, 16, v50
                                        ; implicit-def: $vgpr10
.LBB4_1149:                             ;   in Loop: Header=BB4_107 Depth=1
	s_and_not1_saveexec_b32 s16, s14
	s_cbranch_execz .LBB4_1154
; %bb.1150:                             ;   in Loop: Header=BB4_107 Depth=1
	s_cbranch_execnz .LBB4_1268
; %bb.1151:                             ;   in Loop: Header=BB4_107 Depth=1
	ds_load_b32 v1, v0
	v_cmp_lt_i32_e32 vcc_lo, 0, v10
	s_waitcnt lgkmcnt(0)
	v_readfirstlane_b32 s14, v1
	v_and_b32_e32 v1, 16, v50
	s_delay_alu instid0(VALU_DEP_2) | instskip(NEXT) | instid1(VALU_DEP_1)
	s_cmp_eq_u32 s14, 0
	v_cmp_ne_u32_e64 s14, 0, v1
	s_cselect_b32 vcc_hi, -1, 0
	v_and_b32_e32 v1, 16, v50
	s_and_b32 vcc_lo, vcc_lo, vcc_hi
	s_delay_alu instid0(VALU_DEP_2) | instid1(SALU_CYCLE_1)
	s_and_b32 vcc_lo, s14, vcc_lo
	s_delay_alu instid0(SALU_CYCLE_1)
	s_and_saveexec_b32 s14, vcc_lo
	s_cbranch_execz .LBB4_1153
; %bb.1152:                             ;   in Loop: Header=BB4_107 Depth=1
	v_mov_b32_e32 v1, 1
	s_waitcnt_vscnt null, 0x0
	buffer_gl1_inv
	buffer_gl0_inv
.LBB4_1153:                             ;   in Loop: Header=BB4_107 Depth=1
	s_or_b32 exec_lo, exec_lo, s14
.LBB4_1154:                             ;   in Loop: Header=BB4_107 Depth=1
	s_delay_alu instid0(SALU_CYCLE_1)
	s_or_b32 exec_lo, exec_lo, s16
	s_mov_b32 s14, s18
	s_mov_b32 s16, s17
	s_mov_b32 vcc_hi, exec_lo
	v_cmpx_ne_u32_e32 0, v1
; %bb.1155:                             ;   in Loop: Header=BB4_107 Depth=1
	s_and_not1_b32 s14, s17, exec_lo
	s_and_b32 s16, s12, exec_lo
	s_and_not1_b32 vcc_lo, s18, exec_lo
	s_and_b32 s30, s13, exec_lo
	s_or_b32 s16, s14, s16
	s_or_b32 s14, vcc_lo, s30
; %bb.1156:                             ;   in Loop: Header=BB4_107 Depth=1
	s_or_b32 exec_lo, exec_lo, vcc_hi
	s_delay_alu instid0(SALU_CYCLE_1)
	s_and_not1_b32 vcc_lo, s17, exec_lo
	s_and_b32 s16, s16, exec_lo
	s_and_not1_b32 vcc_hi, s18, exec_lo
	s_and_b32 s14, s14, exec_lo
	s_or_b32 vcc_lo, vcc_lo, s16
	s_or_b32 s16, vcc_hi, s14
.LBB4_1157:                             ;   in Loop: Header=BB4_107 Depth=1
	s_or_b32 exec_lo, exec_lo, s15
	s_delay_alu instid0(SALU_CYCLE_1)
	s_and_not1_b32 s14, s17, exec_lo
	s_and_b32 s15, vcc_lo, exec_lo
	s_and_not1_b32 s18, s18, exec_lo
	s_and_b32 s16, s16, exec_lo
	s_or_b32 s17, s14, s15
	s_or_b32 s18, s18, s16
.LBB4_1158:                             ;   in Loop: Header=BB4_107 Depth=1
	s_or_b32 exec_lo, exec_lo, s19
	s_and_saveexec_b32 s14, s18
	s_cbranch_execz .LBB4_1160
; %bb.1159:                             ;   in Loop: Header=BB4_107 Depth=1
	s_or_b32 s17, s17, exec_lo
	s_waitcnt lgkmcnt(0)
	s_waitcnt_vscnt null, 0x0
	flat_store_b32 v[24:25], v98
.LBB4_1160:                             ;   in Loop: Header=BB4_107 Depth=1
	s_or_b32 exec_lo, exec_lo, s14
	s_delay_alu instid0(SALU_CYCLE_1) | instskip(SKIP_1) | instid1(SALU_CYCLE_1)
	s_and_not1_b32 s14, s28, exec_lo
	s_and_b32 s15, s17, exec_lo
	s_or_b32 s28, s14, s15
.LBB4_1161:                             ;   in Loop: Header=BB4_107 Depth=1
	s_or_b32 exec_lo, exec_lo, s29
	s_and_saveexec_b32 s14, s28
	s_cbranch_execz .LBB4_106
; %bb.1162:                             ;   in Loop: Header=BB4_107 Depth=1
	v_add_co_u32 v8, vcc_lo, v8, 1
	v_add_co_ci_u32_e32 v9, vcc_lo, 0, v9, vcc_lo
	s_waitcnt lgkmcnt(0)
	s_waitcnt_vscnt null, 0x0
	flat_store_b64 v[20:21], v[8:9]
	s_branch .LBB4_106
.LBB4_1163:
	s_trap 2
	s_sendmsg_rtn_b32 s0, sendmsg(MSG_RTN_GET_DOORBELL)
	s_mov_b32 ttmp2, m0
	s_waitcnt lgkmcnt(0)
	s_and_b32 s0, s0, 0x3ff
	s_delay_alu instid0(SALU_CYCLE_1) | instskip(NEXT) | instid1(SALU_CYCLE_1)
	s_bitset1_b32 s0, 10
	s_mov_b32 m0, s0
	s_sendmsg sendmsg(MSG_INTERRUPT)
	s_mov_b32 m0, ttmp2
.LBB4_1164:                             ; =>This Inner Loop Header: Depth=1
	s_sethalt 5
	s_branch .LBB4_1164
.LBB4_1165:
	s_trap 2
	s_sendmsg_rtn_b32 s0, sendmsg(MSG_RTN_GET_DOORBELL)
	s_mov_b32 ttmp2, m0
	s_waitcnt lgkmcnt(0)
	s_and_b32 s0, s0, 0x3ff
	s_delay_alu instid0(SALU_CYCLE_1) | instskip(NEXT) | instid1(SALU_CYCLE_1)
	s_bitset1_b32 s0, 10
	s_mov_b32 m0, s0
	s_sendmsg sendmsg(MSG_INTERRUPT)
	s_mov_b32 m0, ttmp2
.LBB4_1166:                             ; =>This Inner Loop Header: Depth=1
	s_sethalt 5
	s_branch .LBB4_1166
.LBB4_1167:
	s_trap 2
	s_sendmsg_rtn_b32 s0, sendmsg(MSG_RTN_GET_DOORBELL)
	s_mov_b32 ttmp2, m0
	s_waitcnt lgkmcnt(0)
	s_and_b32 s0, s0, 0x3ff
	s_delay_alu instid0(SALU_CYCLE_1) | instskip(NEXT) | instid1(SALU_CYCLE_1)
	s_bitset1_b32 s0, 10
	s_mov_b32 m0, s0
	s_sendmsg sendmsg(MSG_INTERRUPT)
	s_mov_b32 m0, ttmp2
.LBB4_1168:                             ; =>This Inner Loop Header: Depth=1
	s_sethalt 5
	s_branch .LBB4_1168
.LBB4_1169:
	s_trap 2
	s_sendmsg_rtn_b32 s0, sendmsg(MSG_RTN_GET_DOORBELL)
	s_mov_b32 ttmp2, m0
	s_waitcnt lgkmcnt(0)
	s_and_b32 s0, s0, 0x3ff
	s_delay_alu instid0(SALU_CYCLE_1) | instskip(NEXT) | instid1(SALU_CYCLE_1)
	s_bitset1_b32 s0, 10
	s_mov_b32 m0, s0
	s_sendmsg sendmsg(MSG_INTERRUPT)
	s_mov_b32 m0, ttmp2
.LBB4_1170:                             ; =>This Inner Loop Header: Depth=1
	s_sethalt 5
	s_branch .LBB4_1170
.LBB4_1171:
	s_trap 2
	s_sendmsg_rtn_b32 s0, sendmsg(MSG_RTN_GET_DOORBELL)
	s_mov_b32 ttmp2, m0
	s_waitcnt lgkmcnt(0)
	s_and_b32 s0, s0, 0x3ff
	s_delay_alu instid0(SALU_CYCLE_1) | instskip(NEXT) | instid1(SALU_CYCLE_1)
	s_bitset1_b32 s0, 10
	s_mov_b32 m0, s0
	s_sendmsg sendmsg(MSG_INTERRUPT)
	s_mov_b32 m0, ttmp2
.LBB4_1172:                             ; =>This Inner Loop Header: Depth=1
	s_sethalt 5
	s_branch .LBB4_1172
.LBB4_1173:
	s_trap 2
	s_sendmsg_rtn_b32 s0, sendmsg(MSG_RTN_GET_DOORBELL)
	s_mov_b32 ttmp2, m0
	s_waitcnt lgkmcnt(0)
	s_and_b32 s0, s0, 0x3ff
	s_delay_alu instid0(SALU_CYCLE_1) | instskip(NEXT) | instid1(SALU_CYCLE_1)
	s_bitset1_b32 s0, 10
	s_mov_b32 m0, s0
	s_sendmsg sendmsg(MSG_INTERRUPT)
	s_mov_b32 m0, ttmp2
.LBB4_1174:                             ; =>This Inner Loop Header: Depth=1
	s_sethalt 5
	s_branch .LBB4_1174
.LBB4_1175:
	s_trap 2
	s_sendmsg_rtn_b32 s0, sendmsg(MSG_RTN_GET_DOORBELL)
	s_mov_b32 ttmp2, m0
	s_waitcnt lgkmcnt(0)
	s_and_b32 s0, s0, 0x3ff
	s_delay_alu instid0(SALU_CYCLE_1) | instskip(NEXT) | instid1(SALU_CYCLE_1)
	s_bitset1_b32 s0, 10
	s_mov_b32 m0, s0
	s_sendmsg sendmsg(MSG_INTERRUPT)
	s_mov_b32 m0, ttmp2
.LBB4_1176:                             ; =>This Inner Loop Header: Depth=1
	s_sethalt 5
	s_branch .LBB4_1176
.LBB4_1177:
	s_trap 2
	s_sendmsg_rtn_b32 s0, sendmsg(MSG_RTN_GET_DOORBELL)
	s_mov_b32 ttmp2, m0
	s_waitcnt lgkmcnt(0)
	s_and_b32 s0, s0, 0x3ff
	s_delay_alu instid0(SALU_CYCLE_1) | instskip(NEXT) | instid1(SALU_CYCLE_1)
	s_bitset1_b32 s0, 10
	s_mov_b32 m0, s0
	s_sendmsg sendmsg(MSG_INTERRUPT)
	s_mov_b32 m0, ttmp2
.LBB4_1178:                             ; =>This Inner Loop Header: Depth=1
	s_sethalt 5
	s_branch .LBB4_1178
.LBB4_1179:
	s_trap 2
	s_sendmsg_rtn_b32 s0, sendmsg(MSG_RTN_GET_DOORBELL)
	s_mov_b32 ttmp2, m0
	s_waitcnt lgkmcnt(0)
	s_and_b32 s0, s0, 0x3ff
	s_delay_alu instid0(SALU_CYCLE_1) | instskip(NEXT) | instid1(SALU_CYCLE_1)
	s_bitset1_b32 s0, 10
	s_mov_b32 m0, s0
	s_sendmsg sendmsg(MSG_INTERRUPT)
	s_mov_b32 m0, ttmp2
.LBB4_1180:                             ; =>This Inner Loop Header: Depth=1
	s_sethalt 5
	s_branch .LBB4_1180
.LBB4_1181:
	s_trap 2
	s_sendmsg_rtn_b32 s0, sendmsg(MSG_RTN_GET_DOORBELL)
	s_mov_b32 ttmp2, m0
	s_waitcnt lgkmcnt(0)
	s_and_b32 s0, s0, 0x3ff
	s_delay_alu instid0(SALU_CYCLE_1) | instskip(NEXT) | instid1(SALU_CYCLE_1)
	s_bitset1_b32 s0, 10
	s_mov_b32 m0, s0
	s_sendmsg sendmsg(MSG_INTERRUPT)
	s_mov_b32 m0, ttmp2
.LBB4_1182:                             ; =>This Inner Loop Header: Depth=1
	s_sethalt 5
	s_branch .LBB4_1182
.LBB4_1183:
	s_trap 2
	s_sendmsg_rtn_b32 s0, sendmsg(MSG_RTN_GET_DOORBELL)
	s_mov_b32 ttmp2, m0
	s_waitcnt lgkmcnt(0)
	s_and_b32 s0, s0, 0x3ff
	s_delay_alu instid0(SALU_CYCLE_1) | instskip(NEXT) | instid1(SALU_CYCLE_1)
	s_bitset1_b32 s0, 10
	s_mov_b32 m0, s0
	s_sendmsg sendmsg(MSG_INTERRUPT)
	s_mov_b32 m0, ttmp2
.LBB4_1184:                             ; =>This Inner Loop Header: Depth=1
	s_sethalt 5
	s_branch .LBB4_1184
.LBB4_1185:
	s_or_b32 exec_lo, exec_lo, s23
.LBB4_1186:
	s_delay_alu instid0(SALU_CYCLE_1)
	s_or_b32 exec_lo, exec_lo, s22
; %bb.1187:
	v_and_b32_e32 v0, 0x800, v50
	s_mov_b32 s0, exec_lo
	s_delay_alu instid0(VALU_DEP_1)
	v_cmpx_eq_u32_e32 0, v0
	s_cbranch_execz .LBB4_1436
; %bb.1188:
	v_and_b32_e32 v0, 48, v50
	s_mov_b32 s1, exec_lo
	s_delay_alu instid0(VALU_DEP_1)
	v_cmpx_ne_u32_e32 0, v0
	s_cbranch_execz .LBB4_1190
; %bb.1189:
	s_waitcnt lgkmcnt(0)
	flat_store_b64 v[18:19], v[8:9] offset:104
.LBB4_1190:
	s_or_b32 exec_lo, exec_lo, s1
	v_and_b32_e32 v0, 0x88, v50
	s_mov_b32 s1, exec_lo
	s_delay_alu instid0(VALU_DEP_1)
	v_cmpx_eq_u32_e32 0x88, v0
	s_cbranch_execz .LBB4_1206
; %bb.1191:
	s_waitcnt lgkmcnt(0)
	v_add_nc_u32_e32 v0, -1, v8
	s_mov_b32 s2, 0
                                        ; implicit-def: $sgpr3
	s_delay_alu instid0(VALU_DEP_1) | instskip(NEXT) | instid1(VALU_DEP_1)
	v_and_b32_e32 v2, 7, v0
	v_mad_u64_u32 v[0:1], null, v2, 24, v[6:7]
	v_mov_b32_e32 v2, 0
	s_delay_alu instid0(VALU_DEP_2) | instskip(NEXT) | instid1(VALU_DEP_3)
	v_add_co_u32 v0, vcc_lo, v0, 8
	v_add_co_ci_u32_e32 v1, vcc_lo, 0, v1, vcc_lo
	s_branch .LBB4_1196
.LBB4_1192:                             ;   in Loop: Header=BB4_1196 Depth=1
	s_or_b32 exec_lo, exec_lo, s10
	v_mov_b32_e32 v3, 0
	s_or_not1_b32 s7, s7, exec_lo
.LBB4_1193:                             ;   in Loop: Header=BB4_1196 Depth=1
	s_or_b32 exec_lo, exec_lo, s6
	s_delay_alu instid0(VALU_DEP_1)
	v_mov_b32_e32 v2, v3
	s_and_b32 s6, s7, exec_lo
.LBB4_1194:                             ;   in Loop: Header=BB4_1196 Depth=1
	s_or_b32 exec_lo, exec_lo, s5
	s_xor_b32 s5, s6, -1
	s_and_not1_b32 s3, s3, exec_lo
	s_and_b32 s5, s5, exec_lo
	s_delay_alu instid0(SALU_CYCLE_1)
	s_or_b32 s3, s3, s5
.LBB4_1195:                             ;   in Loop: Header=BB4_1196 Depth=1
	s_or_b32 exec_lo, exec_lo, s4
	s_delay_alu instid0(SALU_CYCLE_1) | instskip(NEXT) | instid1(SALU_CYCLE_1)
	s_and_b32 s4, exec_lo, s3
	s_or_b32 s2, s4, s2
	s_delay_alu instid0(SALU_CYCLE_1)
	s_and_not1_b32 exec_lo, exec_lo, s2
	s_cbranch_execz .LBB4_1205
.LBB4_1196:                             ; =>This Inner Loop Header: Depth=1
	flat_load_b64 v[3:4], v[0:1] glc dlc
	s_waitcnt vmcnt(0)
	s_or_b32 s3, s3, exec_lo
	s_mov_b32 s4, exec_lo
	s_waitcnt lgkmcnt(0)
	v_cmpx_ne_u64_e32 -1, v[3:4]
	s_cbranch_execz .LBB4_1195
; %bb.1197:                             ;   in Loop: Header=BB4_1196 Depth=1
	v_and_b32_e32 v3, 64, v50
	s_mov_b32 s6, 0
	s_mov_b32 s5, exec_lo
	s_delay_alu instid0(VALU_DEP_1)
	v_cmpx_eq_u32_e32 0, v3
	s_cbranch_execz .LBB4_1194
; %bb.1198:                             ;   in Loop: Header=BB4_1196 Depth=1
	v_add_nc_u32_e32 v3, 1, v2
	s_mov_b32 s7, -1
	s_mov_b32 s6, exec_lo
	v_cmpx_lt_i32_e32 0x270e, v2
	s_cbranch_execz .LBB4_1193
; %bb.1199:                             ;   in Loop: Header=BB4_1196 Depth=1
	s_cbranch_execnz .LBB4_1203
; %bb.1200:                             ;   in Loop: Header=BB4_1196 Depth=1
	ds_load_b64 v[2:3], v0
	s_mov_b32 s10, exec_lo
	s_waitcnt lgkmcnt(0)
	s_waitcnt_vscnt null, 0x0
	flat_load_b32 v2, v[2:3] glc
	s_waitcnt vmcnt(0) lgkmcnt(0)
	buffer_gl1_inv
	buffer_gl0_inv
	v_cmpx_ne_u32_e32 0, v2
	s_cbranch_execz .LBB4_1192
; %bb.1201:                             ;   in Loop: Header=BB4_1196 Depth=1
	ds_store_b32 v0, v2
	s_cbranch_execnz .LBB4_1219
; %bb.1202:                             ;   in Loop: Header=BB4_1196 Depth=1
	v_or_b32_e32 v50, 64, v50
	s_xor_b32 s7, exec_lo, -1
	s_branch .LBB4_1192
.LBB4_1203:
	s_trap 2
	s_sendmsg_rtn_b32 s0, sendmsg(MSG_RTN_GET_DOORBELL)
	s_mov_b32 ttmp2, m0
	s_waitcnt lgkmcnt(0)
	s_and_b32 s0, s0, 0x3ff
	s_delay_alu instid0(SALU_CYCLE_1) | instskip(NEXT) | instid1(SALU_CYCLE_1)
	s_bitset1_b32 s0, 10
	s_mov_b32 m0, s0
	s_sendmsg sendmsg(MSG_INTERRUPT)
	s_mov_b32 m0, ttmp2
.LBB4_1204:                             ; =>This Inner Loop Header: Depth=1
	s_sethalt 5
	s_branch .LBB4_1204
.LBB4_1205:
	s_or_b32 exec_lo, exec_lo, s2
.LBB4_1206:
	s_delay_alu instid0(SALU_CYCLE_1) | instskip(SKIP_2) | instid1(VALU_DEP_1)
	s_or_b32 exec_lo, exec_lo, s1
	v_and_b32_e32 v0, 0x2000, v50
	s_mov_b32 s1, exec_lo
	v_cmpx_ne_u32_e32 0, v0
	s_cbranch_execz .LBB4_1209
; %bb.1207:
	s_cbranch_execnz .LBB4_1217
; %bb.1208:
	ds_load_b64 v[0:1], v0
	s_waitcnt lgkmcnt(0)
	flat_store_b64 v[16:17], v[0:1] offset:16
.LBB4_1209:
	s_or_b32 exec_lo, exec_lo, s1
	v_cmp_ne_u32_e32 vcc_lo, 32, v30
	s_and_b32 exec_lo, exec_lo, vcc_lo
	s_cbranch_execz .LBB4_1436
; %bb.1210:
	s_mov_b32 s1, exec_lo
	v_cmpx_ne_u32_e64 v30, v52
	s_xor_b32 s1, exec_lo, s1
	s_cbranch_execz .LBB4_1434
; %bb.1211:
	v_and_b32_e32 v0, 31, v31
	s_mov_b32 s2, exec_lo
	s_delay_alu instid0(VALU_DEP_1)
	v_cmpx_eq_u32_e32 0, v0
	s_cbranch_execz .LBB4_1433
; %bb.1212:
	s_mov_b32 s4, exec_lo
	s_mov_b32 s3, exec_lo
	v_mbcnt_lo_u32_b32 v0, s4, 0
	s_waitcnt lgkmcnt(0)
	s_waitcnt_vscnt null, 0x0
	buffer_gl1_inv
	buffer_gl0_inv
	v_cmpx_eq_u32_e32 0, v0
	s_cbranch_execz .LBB4_1214
; %bb.1213:
	s_bcnt1_i32_b32 s4, s4
	s_delay_alu instid0(SALU_CYCLE_1)
	v_dual_mov_b32 v1, 0 :: v_dual_mov_b32 v0, s4
	ds_add_u64 v0, v[0:1]
	s_cbranch_execnz .LBB4_1264
.LBB4_1214:
	s_or_b32 exec_lo, exec_lo, s3
	s_cbranch_execnz .LBB4_1239
; %bb.1215:
	v_ashrrev_i32_e32 v0, 31, v30
	s_mov_b32 s3, exec_lo
	s_delay_alu instid0(VALU_DEP_1) | instskip(NEXT) | instid1(VALU_DEP_1)
	v_lshrrev_b32_e32 v0, 27, v0
	v_add_nc_u32_e32 v0, v30, v0
	ds_load_b64 v[2:3], v0
	v_ashrrev_i32_e32 v0, 5, v0
	s_delay_alu instid0(VALU_DEP_1) | instskip(SKIP_1) | instid1(VALU_DEP_2)
	v_ashrrev_i32_e32 v1, 31, v0
	v_add_co_u32 v0, vcc_lo, v26, v0
	v_add_co_ci_u32_e32 v1, vcc_lo, v27, v1, vcc_lo
	s_waitcnt lgkmcnt(0)
	s_delay_alu instid0(VALU_DEP_1)
	v_cmpx_lt_u64_e64 v[2:3], v[0:1]
	s_cbranch_execz .LBB4_1432
; %bb.1216:
	s_mov_b32 s4, 0
	s_mov_b32 s7, 0
                                        ; implicit-def: $sgpr5
                                        ; implicit-def: $sgpr6
	s_branch .LBB4_1248
.LBB4_1217:
	s_trap 2
	s_sendmsg_rtn_b32 s0, sendmsg(MSG_RTN_GET_DOORBELL)
	s_mov_b32 ttmp2, m0
	s_waitcnt lgkmcnt(0)
	s_and_b32 s0, s0, 0x3ff
	s_delay_alu instid0(SALU_CYCLE_1) | instskip(NEXT) | instid1(SALU_CYCLE_1)
	s_bitset1_b32 s0, 10
	s_mov_b32 m0, s0
	s_sendmsg sendmsg(MSG_INTERRUPT)
	s_mov_b32 m0, ttmp2
.LBB4_1218:                             ; =>This Inner Loop Header: Depth=1
	s_sethalt 5
	s_branch .LBB4_1218
.LBB4_1219:
	s_trap 2
	s_sendmsg_rtn_b32 s0, sendmsg(MSG_RTN_GET_DOORBELL)
	s_mov_b32 ttmp2, m0
	s_waitcnt lgkmcnt(0)
	s_and_b32 s0, s0, 0x3ff
	s_delay_alu instid0(SALU_CYCLE_1) | instskip(NEXT) | instid1(SALU_CYCLE_1)
	s_bitset1_b32 s0, 10
	s_mov_b32 m0, s0
	s_sendmsg sendmsg(MSG_INTERRUPT)
	s_mov_b32 m0, ttmp2
.LBB4_1220:                             ; =>This Inner Loop Header: Depth=1
	s_sethalt 5
	s_branch .LBB4_1220
.LBB4_1221:
	s_trap 2
	s_sendmsg_rtn_b32 s0, sendmsg(MSG_RTN_GET_DOORBELL)
	s_mov_b32 ttmp2, m0
	s_waitcnt lgkmcnt(0)
	s_and_b32 s0, s0, 0x3ff
	s_delay_alu instid0(SALU_CYCLE_1) | instskip(NEXT) | instid1(SALU_CYCLE_1)
	s_bitset1_b32 s0, 10
	s_mov_b32 m0, s0
	s_sendmsg sendmsg(MSG_INTERRUPT)
	s_mov_b32 m0, ttmp2
.LBB4_1222:                             ; =>This Inner Loop Header: Depth=1
	s_sethalt 5
	s_branch .LBB4_1222
.LBB4_1223:
	s_trap 2
	s_sendmsg_rtn_b32 s0, sendmsg(MSG_RTN_GET_DOORBELL)
	s_mov_b32 ttmp2, m0
	s_waitcnt lgkmcnt(0)
	s_and_b32 s0, s0, 0x3ff
	s_delay_alu instid0(SALU_CYCLE_1) | instskip(NEXT) | instid1(SALU_CYCLE_1)
	s_bitset1_b32 s0, 10
	s_mov_b32 m0, s0
	s_sendmsg sendmsg(MSG_INTERRUPT)
	s_mov_b32 m0, ttmp2
.LBB4_1224:                             ; =>This Inner Loop Header: Depth=1
	s_sethalt 5
	s_branch .LBB4_1224
.LBB4_1225:
	s_trap 2
	s_sendmsg_rtn_b32 s0, sendmsg(MSG_RTN_GET_DOORBELL)
	s_mov_b32 ttmp2, m0
	s_waitcnt lgkmcnt(0)
	s_and_b32 s0, s0, 0x3ff
	s_delay_alu instid0(SALU_CYCLE_1) | instskip(NEXT) | instid1(SALU_CYCLE_1)
	s_bitset1_b32 s0, 10
	s_mov_b32 m0, s0
	s_sendmsg sendmsg(MSG_INTERRUPT)
	s_mov_b32 m0, ttmp2
.LBB4_1226:                             ; =>This Inner Loop Header: Depth=1
	s_sethalt 5
	s_branch .LBB4_1226
.LBB4_1227:
	s_trap 2
	s_sendmsg_rtn_b32 s0, sendmsg(MSG_RTN_GET_DOORBELL)
	s_mov_b32 ttmp2, m0
	s_waitcnt lgkmcnt(0)
	s_and_b32 s0, s0, 0x3ff
	s_delay_alu instid0(SALU_CYCLE_1) | instskip(NEXT) | instid1(SALU_CYCLE_1)
	s_bitset1_b32 s0, 10
	s_mov_b32 m0, s0
	s_sendmsg sendmsg(MSG_INTERRUPT)
	s_mov_b32 m0, ttmp2
.LBB4_1228:                             ; =>This Inner Loop Header: Depth=1
	s_sethalt 5
	s_branch .LBB4_1228
.LBB4_1229:
	s_trap 2
	s_sendmsg_rtn_b32 s0, sendmsg(MSG_RTN_GET_DOORBELL)
	s_mov_b32 ttmp2, m0
	s_waitcnt lgkmcnt(0)
	s_and_b32 s0, s0, 0x3ff
	s_delay_alu instid0(SALU_CYCLE_1) | instskip(NEXT) | instid1(SALU_CYCLE_1)
	s_bitset1_b32 s0, 10
	s_mov_b32 m0, s0
	s_sendmsg sendmsg(MSG_INTERRUPT)
	s_mov_b32 m0, ttmp2
.LBB4_1230:                             ; =>This Inner Loop Header: Depth=1
	s_sethalt 5
	s_branch .LBB4_1230
.LBB4_1231:
	s_trap 2
	s_sendmsg_rtn_b32 s0, sendmsg(MSG_RTN_GET_DOORBELL)
	s_mov_b32 ttmp2, m0
	s_waitcnt lgkmcnt(0)
	s_and_b32 s0, s0, 0x3ff
	s_delay_alu instid0(SALU_CYCLE_1) | instskip(NEXT) | instid1(SALU_CYCLE_1)
	s_bitset1_b32 s0, 10
	s_mov_b32 m0, s0
	s_sendmsg sendmsg(MSG_INTERRUPT)
	s_mov_b32 m0, ttmp2
.LBB4_1232:                             ; =>This Inner Loop Header: Depth=1
	s_sethalt 5
	s_branch .LBB4_1232
.LBB4_1233:
	s_trap 2
	s_sendmsg_rtn_b32 s0, sendmsg(MSG_RTN_GET_DOORBELL)
	s_mov_b32 ttmp2, m0
	s_waitcnt lgkmcnt(0)
	s_and_b32 s0, s0, 0x3ff
	s_delay_alu instid0(SALU_CYCLE_1) | instskip(NEXT) | instid1(SALU_CYCLE_1)
	s_bitset1_b32 s0, 10
	s_mov_b32 m0, s0
	s_sendmsg sendmsg(MSG_INTERRUPT)
	s_mov_b32 m0, ttmp2
.LBB4_1234:                             ; =>This Inner Loop Header: Depth=1
	s_sethalt 5
	s_branch .LBB4_1234
.LBB4_1235:
	s_trap 2
	s_sendmsg_rtn_b32 s0, sendmsg(MSG_RTN_GET_DOORBELL)
	s_mov_b32 ttmp2, m0
	s_waitcnt lgkmcnt(0)
	s_and_b32 s0, s0, 0x3ff
	s_delay_alu instid0(SALU_CYCLE_1) | instskip(NEXT) | instid1(SALU_CYCLE_1)
	s_bitset1_b32 s0, 10
	s_mov_b32 m0, s0
	s_sendmsg sendmsg(MSG_INTERRUPT)
	s_mov_b32 m0, ttmp2
.LBB4_1236:                             ; =>This Inner Loop Header: Depth=1
	s_sethalt 5
	s_branch .LBB4_1236
.LBB4_1237:
	s_trap 2
	s_sendmsg_rtn_b32 s0, sendmsg(MSG_RTN_GET_DOORBELL)
	s_mov_b32 ttmp2, m0
	s_waitcnt lgkmcnt(0)
	s_and_b32 s0, s0, 0x3ff
	s_delay_alu instid0(SALU_CYCLE_1) | instskip(NEXT) | instid1(SALU_CYCLE_1)
	s_bitset1_b32 s0, 10
	s_mov_b32 m0, s0
	s_sendmsg sendmsg(MSG_INTERRUPT)
	s_mov_b32 m0, ttmp2
.LBB4_1238:                             ; =>This Inner Loop Header: Depth=1
	s_sethalt 5
	s_branch .LBB4_1238
.LBB4_1239:
	s_trap 2
	s_sendmsg_rtn_b32 s0, sendmsg(MSG_RTN_GET_DOORBELL)
	s_mov_b32 ttmp2, m0
	s_waitcnt lgkmcnt(0)
	s_and_b32 s0, s0, 0x3ff
	s_delay_alu instid0(SALU_CYCLE_1) | instskip(NEXT) | instid1(SALU_CYCLE_1)
	s_bitset1_b32 s0, 10
	s_mov_b32 m0, s0
	s_sendmsg sendmsg(MSG_INTERRUPT)
	s_mov_b32 m0, ttmp2
.LBB4_1240:                             ; =>This Inner Loop Header: Depth=1
	s_sethalt 5
	s_branch .LBB4_1240
.LBB4_1241:
	s_trap 2
	s_sendmsg_rtn_b32 s0, sendmsg(MSG_RTN_GET_DOORBELL)
	s_mov_b32 ttmp2, m0
	s_waitcnt lgkmcnt(0)
	s_and_b32 s0, s0, 0x3ff
	s_delay_alu instid0(SALU_CYCLE_1) | instskip(NEXT) | instid1(SALU_CYCLE_1)
	s_bitset1_b32 s0, 10
	s_mov_b32 m0, s0
	s_sendmsg sendmsg(MSG_INTERRUPT)
	s_mov_b32 m0, ttmp2
.LBB4_1242:                             ; =>This Inner Loop Header: Depth=1
	s_sethalt 5
	s_branch .LBB4_1242
.LBB4_1243:
	s_trap 2
	s_sendmsg_rtn_b32 s0, sendmsg(MSG_RTN_GET_DOORBELL)
	s_mov_b32 ttmp2, m0
	s_waitcnt lgkmcnt(0)
	s_and_b32 s0, s0, 0x3ff
	s_delay_alu instid0(SALU_CYCLE_1) | instskip(NEXT) | instid1(SALU_CYCLE_1)
	s_bitset1_b32 s0, 10
	s_mov_b32 m0, s0
	s_sendmsg sendmsg(MSG_INTERRUPT)
	s_mov_b32 m0, ttmp2
.LBB4_1244:                             ; =>This Inner Loop Header: Depth=1
	s_sethalt 5
	s_branch .LBB4_1244
.LBB4_1245:
	s_trap 2
	s_sendmsg_rtn_b32 s0, sendmsg(MSG_RTN_GET_DOORBELL)
	s_mov_b32 ttmp2, m0
	s_waitcnt lgkmcnt(0)
	s_and_b32 s0, s0, 0x3ff
	s_delay_alu instid0(SALU_CYCLE_1) | instskip(NEXT) | instid1(SALU_CYCLE_1)
	s_bitset1_b32 s0, 10
	s_mov_b32 m0, s0
	s_sendmsg sendmsg(MSG_INTERRUPT)
	s_mov_b32 m0, ttmp2
.LBB4_1246:                             ; =>This Inner Loop Header: Depth=1
	s_sethalt 5
	s_branch .LBB4_1246
.LBB4_1247:                             ;   in Loop: Header=BB4_1248 Depth=1
	s_or_b32 exec_lo, exec_lo, s12
	s_delay_alu instid0(SALU_CYCLE_1) | instskip(NEXT) | instid1(SALU_CYCLE_1)
	s_and_b32 s10, exec_lo, s11
	s_or_b32 s4, s10, s4
	s_and_not1_b32 s5, s5, exec_lo
	s_and_b32 s10, s6, exec_lo
	s_delay_alu instid0(SALU_CYCLE_1)
	s_or_b32 s5, s5, s10
	s_and_not1_b32 exec_lo, exec_lo, s4
	s_cbranch_execz .LBB4_1430
.LBB4_1248:                             ; =>This Inner Loop Header: Depth=1
	s_add_i32 s7, s7, 1
                                        ; implicit-def: $sgpr11
	s_delay_alu instid0(SALU_CYCLE_1) | instskip(SKIP_1) | instid1(SALU_CYCLE_1)
	s_cmpk_lg_i32 s7, 0x2710
	s_cselect_b32 s10, -1, 0
	s_and_b32 vcc_lo, exec_lo, s10
	s_cbranch_vccz .LBB4_1252
.LBB4_1249:                             ;   in Loop: Header=BB4_1248 Depth=1
	s_and_not1_b32 s6, s6, exec_lo
	s_and_b32 s12, s11, exec_lo
	s_mov_b32 s11, -1
	s_or_b32 s6, s6, s12
	s_and_saveexec_b32 s12, s10
	s_cbranch_execz .LBB4_1247
; %bb.1250:                             ;   in Loop: Header=BB4_1248 Depth=1
	s_sleep 1
	s_cbranch_execnz .LBB4_1274
; %bb.1251:                             ;   in Loop: Header=BB4_1248 Depth=1
	ds_load_b64 v[2:3], v0
	s_and_not1_b32 s6, s6, exec_lo
	s_waitcnt lgkmcnt(0)
	v_cmp_ge_u64_e32 vcc_lo, v[2:3], v[0:1]
	s_or_not1_b32 s11, vcc_lo, exec_lo
	s_branch .LBB4_1247
.LBB4_1252:                             ;   in Loop: Header=BB4_1248 Depth=1
	s_cbranch_execnz .LBB4_1290
; %bb.1253:                             ;   in Loop: Header=BB4_1248 Depth=1
	ds_load_b64 v[2:3], v0
	s_and_not1_b32 s10, s10, exec_lo
	s_mov_b32 s7, 0
	s_mov_b32 s11, -1
	s_waitcnt lgkmcnt(0)
	flat_load_b32 v2, v[2:3] glc
	s_waitcnt vmcnt(0) lgkmcnt(0)
	buffer_gl1_inv
	buffer_gl0_inv
	v_cmp_eq_u32_e32 vcc_lo, 0, v2
	s_and_b32 s12, vcc_lo, exec_lo
	s_delay_alu instid0(SALU_CYCLE_1)
	s_or_b32 s10, s10, s12
	s_branch .LBB4_1249
.LBB4_1254:
	s_trap 2
	s_sendmsg_rtn_b32 s0, sendmsg(MSG_RTN_GET_DOORBELL)
	s_mov_b32 ttmp2, m0
	s_waitcnt lgkmcnt(0)
	s_and_b32 s0, s0, 0x3ff
	s_delay_alu instid0(SALU_CYCLE_1) | instskip(NEXT) | instid1(SALU_CYCLE_1)
	s_bitset1_b32 s0, 10
	s_mov_b32 m0, s0
	s_sendmsg sendmsg(MSG_INTERRUPT)
	s_mov_b32 m0, ttmp2
.LBB4_1255:                             ; =>This Inner Loop Header: Depth=1
	s_sethalt 5
	s_branch .LBB4_1255
.LBB4_1256:
	s_trap 2
	s_sendmsg_rtn_b32 s0, sendmsg(MSG_RTN_GET_DOORBELL)
	s_mov_b32 ttmp2, m0
	s_waitcnt lgkmcnt(0)
	s_and_b32 s0, s0, 0x3ff
	s_delay_alu instid0(SALU_CYCLE_1) | instskip(NEXT) | instid1(SALU_CYCLE_1)
	s_bitset1_b32 s0, 10
	s_mov_b32 m0, s0
	s_sendmsg sendmsg(MSG_INTERRUPT)
	s_mov_b32 m0, ttmp2
.LBB4_1257:                             ; =>This Inner Loop Header: Depth=1
	s_sethalt 5
	s_branch .LBB4_1257
.LBB4_1258:
	s_trap 2
	s_sendmsg_rtn_b32 s0, sendmsg(MSG_RTN_GET_DOORBELL)
	s_mov_b32 ttmp2, m0
	s_waitcnt lgkmcnt(0)
	s_and_b32 s0, s0, 0x3ff
	s_delay_alu instid0(SALU_CYCLE_1) | instskip(NEXT) | instid1(SALU_CYCLE_1)
	s_bitset1_b32 s0, 10
	s_mov_b32 m0, s0
	s_sendmsg sendmsg(MSG_INTERRUPT)
	s_mov_b32 m0, ttmp2
.LBB4_1259:                             ; =>This Inner Loop Header: Depth=1
	s_sethalt 5
	s_branch .LBB4_1259
.LBB4_1260:
	s_trap 2
	s_sendmsg_rtn_b32 s0, sendmsg(MSG_RTN_GET_DOORBELL)
	s_mov_b32 ttmp2, m0
	s_waitcnt lgkmcnt(0)
	s_and_b32 s0, s0, 0x3ff
	s_delay_alu instid0(SALU_CYCLE_1) | instskip(NEXT) | instid1(SALU_CYCLE_1)
	s_bitset1_b32 s0, 10
	s_mov_b32 m0, s0
	s_sendmsg sendmsg(MSG_INTERRUPT)
	s_mov_b32 m0, ttmp2
.LBB4_1261:                             ; =>This Inner Loop Header: Depth=1
	s_sethalt 5
	s_branch .LBB4_1261
.LBB4_1262:
	s_trap 2
	s_sendmsg_rtn_b32 s0, sendmsg(MSG_RTN_GET_DOORBELL)
	s_mov_b32 ttmp2, m0
	s_waitcnt lgkmcnt(0)
	s_and_b32 s0, s0, 0x3ff
	s_delay_alu instid0(SALU_CYCLE_1) | instskip(NEXT) | instid1(SALU_CYCLE_1)
	s_bitset1_b32 s0, 10
	s_mov_b32 m0, s0
	s_sendmsg sendmsg(MSG_INTERRUPT)
	s_mov_b32 m0, ttmp2
.LBB4_1263:                             ; =>This Inner Loop Header: Depth=1
	s_sethalt 5
	s_branch .LBB4_1263
.LBB4_1264:
	s_trap 2
	s_sendmsg_rtn_b32 s0, sendmsg(MSG_RTN_GET_DOORBELL)
	s_mov_b32 ttmp2, m0
	s_waitcnt lgkmcnt(0)
	s_and_b32 s0, s0, 0x3ff
	s_delay_alu instid0(SALU_CYCLE_1) | instskip(NEXT) | instid1(SALU_CYCLE_1)
	s_bitset1_b32 s0, 10
	s_mov_b32 m0, s0
	s_sendmsg sendmsg(MSG_INTERRUPT)
	s_mov_b32 m0, ttmp2
.LBB4_1265:                             ; =>This Inner Loop Header: Depth=1
	s_sethalt 5
	s_branch .LBB4_1265
.LBB4_1266:
	s_trap 2
	s_sendmsg_rtn_b32 s0, sendmsg(MSG_RTN_GET_DOORBELL)
	s_mov_b32 ttmp2, m0
	s_waitcnt lgkmcnt(0)
	s_and_b32 s0, s0, 0x3ff
	s_delay_alu instid0(SALU_CYCLE_1) | instskip(NEXT) | instid1(SALU_CYCLE_1)
	s_bitset1_b32 s0, 10
	s_mov_b32 m0, s0
	s_sendmsg sendmsg(MSG_INTERRUPT)
	s_mov_b32 m0, ttmp2
.LBB4_1267:                             ; =>This Inner Loop Header: Depth=1
	s_sethalt 5
	s_branch .LBB4_1267
.LBB4_1268:
	s_trap 2
	s_sendmsg_rtn_b32 s0, sendmsg(MSG_RTN_GET_DOORBELL)
	s_mov_b32 ttmp2, m0
	s_waitcnt lgkmcnt(0)
	s_and_b32 s0, s0, 0x3ff
	s_delay_alu instid0(SALU_CYCLE_1) | instskip(NEXT) | instid1(SALU_CYCLE_1)
	s_bitset1_b32 s0, 10
	s_mov_b32 m0, s0
	s_sendmsg sendmsg(MSG_INTERRUPT)
	s_mov_b32 m0, ttmp2
.LBB4_1269:                             ; =>This Inner Loop Header: Depth=1
	s_sethalt 5
	s_branch .LBB4_1269
.LBB4_1270:
	s_trap 2
	s_sendmsg_rtn_b32 s0, sendmsg(MSG_RTN_GET_DOORBELL)
	s_mov_b32 ttmp2, m0
	s_waitcnt lgkmcnt(0)
	s_and_b32 s0, s0, 0x3ff
	s_delay_alu instid0(SALU_CYCLE_1) | instskip(NEXT) | instid1(SALU_CYCLE_1)
	s_bitset1_b32 s0, 10
	s_mov_b32 m0, s0
	s_sendmsg sendmsg(MSG_INTERRUPT)
	s_mov_b32 m0, ttmp2
.LBB4_1271:                             ; =>This Inner Loop Header: Depth=1
	s_sethalt 5
	s_branch .LBB4_1271
.LBB4_1272:
	s_trap 2
	s_sendmsg_rtn_b32 s0, sendmsg(MSG_RTN_GET_DOORBELL)
	s_mov_b32 ttmp2, m0
	s_waitcnt lgkmcnt(0)
	s_and_b32 s0, s0, 0x3ff
	s_delay_alu instid0(SALU_CYCLE_1) | instskip(NEXT) | instid1(SALU_CYCLE_1)
	s_bitset1_b32 s0, 10
	s_mov_b32 m0, s0
	s_sendmsg sendmsg(MSG_INTERRUPT)
	s_mov_b32 m0, ttmp2
.LBB4_1273:                             ; =>This Inner Loop Header: Depth=1
	s_sethalt 5
	s_branch .LBB4_1273
.LBB4_1274:
	s_trap 2
	s_sendmsg_rtn_b32 s0, sendmsg(MSG_RTN_GET_DOORBELL)
	s_mov_b32 ttmp2, m0
	s_waitcnt lgkmcnt(0)
	s_and_b32 s0, s0, 0x3ff
	s_delay_alu instid0(SALU_CYCLE_1) | instskip(NEXT) | instid1(SALU_CYCLE_1)
	s_bitset1_b32 s0, 10
	s_mov_b32 m0, s0
	s_sendmsg sendmsg(MSG_INTERRUPT)
	s_mov_b32 m0, ttmp2
.LBB4_1275:                             ; =>This Inner Loop Header: Depth=1
	s_sethalt 5
	s_branch .LBB4_1275
.LBB4_1276:
	s_trap 2
	s_sendmsg_rtn_b32 s0, sendmsg(MSG_RTN_GET_DOORBELL)
	s_mov_b32 ttmp2, m0
	s_waitcnt lgkmcnt(0)
	s_and_b32 s0, s0, 0x3ff
	s_delay_alu instid0(SALU_CYCLE_1) | instskip(NEXT) | instid1(SALU_CYCLE_1)
	s_bitset1_b32 s0, 10
	s_mov_b32 m0, s0
	s_sendmsg sendmsg(MSG_INTERRUPT)
	s_mov_b32 m0, ttmp2
.LBB4_1277:                             ; =>This Inner Loop Header: Depth=1
	s_sethalt 5
	s_branch .LBB4_1277
.LBB4_1278:
	s_trap 2
	s_sendmsg_rtn_b32 s0, sendmsg(MSG_RTN_GET_DOORBELL)
	s_mov_b32 ttmp2, m0
	s_waitcnt lgkmcnt(0)
	s_and_b32 s0, s0, 0x3ff
	s_delay_alu instid0(SALU_CYCLE_1) | instskip(NEXT) | instid1(SALU_CYCLE_1)
	s_bitset1_b32 s0, 10
	s_mov_b32 m0, s0
	s_sendmsg sendmsg(MSG_INTERRUPT)
	s_mov_b32 m0, ttmp2
.LBB4_1279:                             ; =>This Inner Loop Header: Depth=1
	s_sethalt 5
	s_branch .LBB4_1279
.LBB4_1280:
	s_trap 2
	s_sendmsg_rtn_b32 s0, sendmsg(MSG_RTN_GET_DOORBELL)
	s_mov_b32 ttmp2, m0
	s_waitcnt lgkmcnt(0)
	s_and_b32 s0, s0, 0x3ff
	s_delay_alu instid0(SALU_CYCLE_1) | instskip(NEXT) | instid1(SALU_CYCLE_1)
	s_bitset1_b32 s0, 10
	s_mov_b32 m0, s0
	s_sendmsg sendmsg(MSG_INTERRUPT)
	s_mov_b32 m0, ttmp2
.LBB4_1281:                             ; =>This Inner Loop Header: Depth=1
	s_sethalt 5
	s_branch .LBB4_1281
.LBB4_1282:
	s_trap 2
	s_sendmsg_rtn_b32 s0, sendmsg(MSG_RTN_GET_DOORBELL)
	s_mov_b32 ttmp2, m0
	s_waitcnt lgkmcnt(0)
	s_and_b32 s0, s0, 0x3ff
	s_delay_alu instid0(SALU_CYCLE_1) | instskip(NEXT) | instid1(SALU_CYCLE_1)
	s_bitset1_b32 s0, 10
	s_mov_b32 m0, s0
	s_sendmsg sendmsg(MSG_INTERRUPT)
	s_mov_b32 m0, ttmp2
.LBB4_1283:                             ; =>This Inner Loop Header: Depth=1
	s_sethalt 5
	s_branch .LBB4_1283
.LBB4_1284:
	s_trap 2
	s_sendmsg_rtn_b32 s0, sendmsg(MSG_RTN_GET_DOORBELL)
	s_mov_b32 ttmp2, m0
	s_waitcnt lgkmcnt(0)
	s_and_b32 s0, s0, 0x3ff
	s_delay_alu instid0(SALU_CYCLE_1) | instskip(NEXT) | instid1(SALU_CYCLE_1)
	s_bitset1_b32 s0, 10
	s_mov_b32 m0, s0
	s_sendmsg sendmsg(MSG_INTERRUPT)
	s_mov_b32 m0, ttmp2
.LBB4_1285:                             ; =>This Inner Loop Header: Depth=1
	s_sethalt 5
	s_branch .LBB4_1285
.LBB4_1286:
	s_trap 2
	s_sendmsg_rtn_b32 s0, sendmsg(MSG_RTN_GET_DOORBELL)
	s_mov_b32 ttmp2, m0
	s_waitcnt lgkmcnt(0)
	s_and_b32 s0, s0, 0x3ff
	s_delay_alu instid0(SALU_CYCLE_1) | instskip(NEXT) | instid1(SALU_CYCLE_1)
	s_bitset1_b32 s0, 10
	s_mov_b32 m0, s0
	s_sendmsg sendmsg(MSG_INTERRUPT)
	s_mov_b32 m0, ttmp2
.LBB4_1287:                             ; =>This Inner Loop Header: Depth=1
	s_sethalt 5
	s_branch .LBB4_1287
.LBB4_1288:
	s_trap 2
	s_sendmsg_rtn_b32 s0, sendmsg(MSG_RTN_GET_DOORBELL)
	s_mov_b32 ttmp2, m0
	s_waitcnt lgkmcnt(0)
	s_and_b32 s0, s0, 0x3ff
	s_delay_alu instid0(SALU_CYCLE_1) | instskip(NEXT) | instid1(SALU_CYCLE_1)
	s_bitset1_b32 s0, 10
	s_mov_b32 m0, s0
	s_sendmsg sendmsg(MSG_INTERRUPT)
	s_mov_b32 m0, ttmp2
.LBB4_1289:                             ; =>This Inner Loop Header: Depth=1
	s_sethalt 5
	s_branch .LBB4_1289
.LBB4_1290:
	s_trap 2
	s_sendmsg_rtn_b32 s0, sendmsg(MSG_RTN_GET_DOORBELL)
	s_mov_b32 ttmp2, m0
	s_waitcnt lgkmcnt(0)
	s_and_b32 s0, s0, 0x3ff
	s_delay_alu instid0(SALU_CYCLE_1) | instskip(NEXT) | instid1(SALU_CYCLE_1)
	s_bitset1_b32 s0, 10
	s_mov_b32 m0, s0
	s_sendmsg sendmsg(MSG_INTERRUPT)
	s_mov_b32 m0, ttmp2
.LBB4_1291:                             ; =>This Inner Loop Header: Depth=1
	s_sethalt 5
	s_branch .LBB4_1291
.LBB4_1292:
	s_trap 2
	s_sendmsg_rtn_b32 s0, sendmsg(MSG_RTN_GET_DOORBELL)
	s_mov_b32 ttmp2, m0
	s_waitcnt lgkmcnt(0)
	s_and_b32 s0, s0, 0x3ff
	s_delay_alu instid0(SALU_CYCLE_1) | instskip(NEXT) | instid1(SALU_CYCLE_1)
	s_bitset1_b32 s0, 10
	s_mov_b32 m0, s0
	s_sendmsg sendmsg(MSG_INTERRUPT)
	s_mov_b32 m0, ttmp2
.LBB4_1293:                             ; =>This Inner Loop Header: Depth=1
	s_sethalt 5
	s_branch .LBB4_1293
.LBB4_1294:
	s_trap 2
	s_sendmsg_rtn_b32 s0, sendmsg(MSG_RTN_GET_DOORBELL)
	s_mov_b32 ttmp2, m0
	s_waitcnt lgkmcnt(0)
	s_and_b32 s0, s0, 0x3ff
	s_delay_alu instid0(SALU_CYCLE_1) | instskip(NEXT) | instid1(SALU_CYCLE_1)
	s_bitset1_b32 s0, 10
	s_mov_b32 m0, s0
	s_sendmsg sendmsg(MSG_INTERRUPT)
	s_mov_b32 m0, ttmp2
.LBB4_1295:                             ; =>This Inner Loop Header: Depth=1
	s_sethalt 5
	s_branch .LBB4_1295
.LBB4_1296:
	s_trap 2
	s_sendmsg_rtn_b32 s0, sendmsg(MSG_RTN_GET_DOORBELL)
	s_mov_b32 ttmp2, m0
	s_waitcnt lgkmcnt(0)
	s_and_b32 s0, s0, 0x3ff
	s_delay_alu instid0(SALU_CYCLE_1) | instskip(NEXT) | instid1(SALU_CYCLE_1)
	s_bitset1_b32 s0, 10
	s_mov_b32 m0, s0
	s_sendmsg sendmsg(MSG_INTERRUPT)
	s_mov_b32 m0, ttmp2
.LBB4_1297:                             ; =>This Inner Loop Header: Depth=1
	s_sethalt 5
	s_branch .LBB4_1297
.LBB4_1298:
	s_trap 2
	s_sendmsg_rtn_b32 s0, sendmsg(MSG_RTN_GET_DOORBELL)
	s_mov_b32 ttmp2, m0
	s_waitcnt lgkmcnt(0)
	s_and_b32 s0, s0, 0x3ff
	s_delay_alu instid0(SALU_CYCLE_1) | instskip(NEXT) | instid1(SALU_CYCLE_1)
	s_bitset1_b32 s0, 10
	s_mov_b32 m0, s0
	s_sendmsg sendmsg(MSG_INTERRUPT)
	s_mov_b32 m0, ttmp2
.LBB4_1299:                             ; =>This Inner Loop Header: Depth=1
	s_sethalt 5
	s_branch .LBB4_1299
.LBB4_1300:
	s_trap 2
	s_sendmsg_rtn_b32 s0, sendmsg(MSG_RTN_GET_DOORBELL)
	s_mov_b32 ttmp2, m0
	s_waitcnt lgkmcnt(0)
	s_and_b32 s0, s0, 0x3ff
	s_delay_alu instid0(SALU_CYCLE_1) | instskip(NEXT) | instid1(SALU_CYCLE_1)
	s_bitset1_b32 s0, 10
	s_mov_b32 m0, s0
	s_sendmsg sendmsg(MSG_INTERRUPT)
	s_mov_b32 m0, ttmp2
.LBB4_1301:                             ; =>This Inner Loop Header: Depth=1
	s_sethalt 5
	s_branch .LBB4_1301
.LBB4_1302:
	s_trap 2
	s_sendmsg_rtn_b32 s0, sendmsg(MSG_RTN_GET_DOORBELL)
	s_mov_b32 ttmp2, m0
	s_waitcnt lgkmcnt(0)
	s_and_b32 s0, s0, 0x3ff
	s_delay_alu instid0(SALU_CYCLE_1) | instskip(NEXT) | instid1(SALU_CYCLE_1)
	s_bitset1_b32 s0, 10
	s_mov_b32 m0, s0
	s_sendmsg sendmsg(MSG_INTERRUPT)
	s_mov_b32 m0, ttmp2
.LBB4_1303:                             ; =>This Inner Loop Header: Depth=1
	s_sethalt 5
	s_branch .LBB4_1303
.LBB4_1304:
	s_trap 2
	s_sendmsg_rtn_b32 s0, sendmsg(MSG_RTN_GET_DOORBELL)
	s_mov_b32 ttmp2, m0
	s_waitcnt lgkmcnt(0)
	s_and_b32 s0, s0, 0x3ff
	s_delay_alu instid0(SALU_CYCLE_1) | instskip(NEXT) | instid1(SALU_CYCLE_1)
	s_bitset1_b32 s0, 10
	s_mov_b32 m0, s0
	s_sendmsg sendmsg(MSG_INTERRUPT)
	s_mov_b32 m0, ttmp2
.LBB4_1305:                             ; =>This Inner Loop Header: Depth=1
	s_sethalt 5
	s_branch .LBB4_1305
.LBB4_1306:
	s_trap 2
	s_sendmsg_rtn_b32 s0, sendmsg(MSG_RTN_GET_DOORBELL)
	s_mov_b32 ttmp2, m0
	s_waitcnt lgkmcnt(0)
	s_and_b32 s0, s0, 0x3ff
	s_delay_alu instid0(SALU_CYCLE_1) | instskip(NEXT) | instid1(SALU_CYCLE_1)
	s_bitset1_b32 s0, 10
	s_mov_b32 m0, s0
	s_sendmsg sendmsg(MSG_INTERRUPT)
	s_mov_b32 m0, ttmp2
.LBB4_1307:                             ; =>This Inner Loop Header: Depth=1
	s_sethalt 5
	s_branch .LBB4_1307
.LBB4_1308:
	s_trap 2
	s_sendmsg_rtn_b32 s0, sendmsg(MSG_RTN_GET_DOORBELL)
	s_mov_b32 ttmp2, m0
	s_waitcnt lgkmcnt(0)
	s_and_b32 s0, s0, 0x3ff
	s_delay_alu instid0(SALU_CYCLE_1) | instskip(NEXT) | instid1(SALU_CYCLE_1)
	s_bitset1_b32 s0, 10
	s_mov_b32 m0, s0
	s_sendmsg sendmsg(MSG_INTERRUPT)
	s_mov_b32 m0, ttmp2
.LBB4_1309:                             ; =>This Inner Loop Header: Depth=1
	s_sethalt 5
	s_branch .LBB4_1309
.LBB4_1310:
	s_trap 2
	s_sendmsg_rtn_b32 s0, sendmsg(MSG_RTN_GET_DOORBELL)
	s_mov_b32 ttmp2, m0
	s_waitcnt lgkmcnt(0)
	s_and_b32 s0, s0, 0x3ff
	s_delay_alu instid0(SALU_CYCLE_1) | instskip(NEXT) | instid1(SALU_CYCLE_1)
	s_bitset1_b32 s0, 10
	s_mov_b32 m0, s0
	s_sendmsg sendmsg(MSG_INTERRUPT)
	s_mov_b32 m0, ttmp2
.LBB4_1311:                             ; =>This Inner Loop Header: Depth=1
	s_sethalt 5
	s_branch .LBB4_1311
.LBB4_1312:
	s_trap 2
	s_sendmsg_rtn_b32 s0, sendmsg(MSG_RTN_GET_DOORBELL)
	s_mov_b32 ttmp2, m0
	s_waitcnt lgkmcnt(0)
	s_and_b32 s0, s0, 0x3ff
	s_delay_alu instid0(SALU_CYCLE_1) | instskip(NEXT) | instid1(SALU_CYCLE_1)
	s_bitset1_b32 s0, 10
	s_mov_b32 m0, s0
	s_sendmsg sendmsg(MSG_INTERRUPT)
	s_mov_b32 m0, ttmp2
.LBB4_1313:                             ; =>This Inner Loop Header: Depth=1
	s_sethalt 5
	s_branch .LBB4_1313
.LBB4_1314:
	s_trap 2
	s_sendmsg_rtn_b32 s0, sendmsg(MSG_RTN_GET_DOORBELL)
	s_mov_b32 ttmp2, m0
	s_waitcnt lgkmcnt(0)
	s_and_b32 s0, s0, 0x3ff
	s_delay_alu instid0(SALU_CYCLE_1) | instskip(NEXT) | instid1(SALU_CYCLE_1)
	s_bitset1_b32 s0, 10
	s_mov_b32 m0, s0
	s_sendmsg sendmsg(MSG_INTERRUPT)
	s_mov_b32 m0, ttmp2
.LBB4_1315:                             ; =>This Inner Loop Header: Depth=1
	s_sethalt 5
	s_branch .LBB4_1315
.LBB4_1316:
	s_trap 2
	s_sendmsg_rtn_b32 s0, sendmsg(MSG_RTN_GET_DOORBELL)
	s_mov_b32 ttmp2, m0
	s_waitcnt lgkmcnt(0)
	s_and_b32 s0, s0, 0x3ff
	s_delay_alu instid0(SALU_CYCLE_1) | instskip(NEXT) | instid1(SALU_CYCLE_1)
	s_bitset1_b32 s0, 10
	s_mov_b32 m0, s0
	s_sendmsg sendmsg(MSG_INTERRUPT)
	s_mov_b32 m0, ttmp2
.LBB4_1317:                             ; =>This Inner Loop Header: Depth=1
	s_sethalt 5
	s_branch .LBB4_1317
.LBB4_1318:
	s_trap 2
	s_sendmsg_rtn_b32 s0, sendmsg(MSG_RTN_GET_DOORBELL)
	s_mov_b32 ttmp2, m0
	s_waitcnt lgkmcnt(0)
	s_and_b32 s0, s0, 0x3ff
	s_delay_alu instid0(SALU_CYCLE_1) | instskip(NEXT) | instid1(SALU_CYCLE_1)
	s_bitset1_b32 s0, 10
	s_mov_b32 m0, s0
	s_sendmsg sendmsg(MSG_INTERRUPT)
	s_mov_b32 m0, ttmp2
.LBB4_1319:                             ; =>This Inner Loop Header: Depth=1
	s_sethalt 5
	s_branch .LBB4_1319
.LBB4_1320:
	s_trap 2
	s_sendmsg_rtn_b32 s0, sendmsg(MSG_RTN_GET_DOORBELL)
	s_mov_b32 ttmp2, m0
	s_waitcnt lgkmcnt(0)
	s_and_b32 s0, s0, 0x3ff
	s_delay_alu instid0(SALU_CYCLE_1) | instskip(NEXT) | instid1(SALU_CYCLE_1)
	s_bitset1_b32 s0, 10
	s_mov_b32 m0, s0
	s_sendmsg sendmsg(MSG_INTERRUPT)
	s_mov_b32 m0, ttmp2
.LBB4_1321:                             ; =>This Inner Loop Header: Depth=1
	s_sethalt 5
	s_branch .LBB4_1321
.LBB4_1322:
	s_trap 2
	s_sendmsg_rtn_b32 s0, sendmsg(MSG_RTN_GET_DOORBELL)
	s_mov_b32 ttmp2, m0
	s_waitcnt lgkmcnt(0)
	s_and_b32 s0, s0, 0x3ff
	s_delay_alu instid0(SALU_CYCLE_1) | instskip(NEXT) | instid1(SALU_CYCLE_1)
	s_bitset1_b32 s0, 10
	s_mov_b32 m0, s0
	s_sendmsg sendmsg(MSG_INTERRUPT)
	s_mov_b32 m0, ttmp2
.LBB4_1323:                             ; =>This Inner Loop Header: Depth=1
	s_sethalt 5
	s_branch .LBB4_1323
.LBB4_1324:
	s_trap 2
	s_sendmsg_rtn_b32 s0, sendmsg(MSG_RTN_GET_DOORBELL)
	s_mov_b32 ttmp2, m0
	s_waitcnt lgkmcnt(0)
	s_and_b32 s0, s0, 0x3ff
	s_delay_alu instid0(SALU_CYCLE_1) | instskip(NEXT) | instid1(SALU_CYCLE_1)
	s_bitset1_b32 s0, 10
	s_mov_b32 m0, s0
	s_sendmsg sendmsg(MSG_INTERRUPT)
	s_mov_b32 m0, ttmp2
.LBB4_1325:                             ; =>This Inner Loop Header: Depth=1
	s_sethalt 5
	s_branch .LBB4_1325
.LBB4_1326:
	s_trap 2
	s_sendmsg_rtn_b32 s0, sendmsg(MSG_RTN_GET_DOORBELL)
	s_mov_b32 ttmp2, m0
	s_waitcnt lgkmcnt(0)
	s_and_b32 s0, s0, 0x3ff
	s_delay_alu instid0(SALU_CYCLE_1) | instskip(NEXT) | instid1(SALU_CYCLE_1)
	s_bitset1_b32 s0, 10
	s_mov_b32 m0, s0
	s_sendmsg sendmsg(MSG_INTERRUPT)
	s_mov_b32 m0, ttmp2
.LBB4_1327:                             ; =>This Inner Loop Header: Depth=1
	s_sethalt 5
	s_branch .LBB4_1327
.LBB4_1328:
	s_trap 2
	s_sendmsg_rtn_b32 s0, sendmsg(MSG_RTN_GET_DOORBELL)
	s_mov_b32 ttmp2, m0
	s_waitcnt lgkmcnt(0)
	s_and_b32 s0, s0, 0x3ff
	s_delay_alu instid0(SALU_CYCLE_1) | instskip(NEXT) | instid1(SALU_CYCLE_1)
	s_bitset1_b32 s0, 10
	s_mov_b32 m0, s0
	s_sendmsg sendmsg(MSG_INTERRUPT)
	s_mov_b32 m0, ttmp2
.LBB4_1329:                             ; =>This Inner Loop Header: Depth=1
	s_sethalt 5
	s_branch .LBB4_1329
.LBB4_1330:
	s_trap 2
	s_sendmsg_rtn_b32 s0, sendmsg(MSG_RTN_GET_DOORBELL)
	s_mov_b32 ttmp2, m0
	s_waitcnt lgkmcnt(0)
	s_and_b32 s0, s0, 0x3ff
	s_delay_alu instid0(SALU_CYCLE_1) | instskip(NEXT) | instid1(SALU_CYCLE_1)
	s_bitset1_b32 s0, 10
	s_mov_b32 m0, s0
	s_sendmsg sendmsg(MSG_INTERRUPT)
	s_mov_b32 m0, ttmp2
.LBB4_1331:                             ; =>This Inner Loop Header: Depth=1
	s_sethalt 5
	s_branch .LBB4_1331
.LBB4_1332:
	s_trap 2
	s_sendmsg_rtn_b32 s0, sendmsg(MSG_RTN_GET_DOORBELL)
	s_mov_b32 ttmp2, m0
	s_waitcnt lgkmcnt(0)
	s_and_b32 s0, s0, 0x3ff
	s_delay_alu instid0(SALU_CYCLE_1) | instskip(NEXT) | instid1(SALU_CYCLE_1)
	s_bitset1_b32 s0, 10
	s_mov_b32 m0, s0
	s_sendmsg sendmsg(MSG_INTERRUPT)
	s_mov_b32 m0, ttmp2
.LBB4_1333:                             ; =>This Inner Loop Header: Depth=1
	s_sethalt 5
	s_branch .LBB4_1333
.LBB4_1334:
	s_trap 2
	s_sendmsg_rtn_b32 s0, sendmsg(MSG_RTN_GET_DOORBELL)
	s_mov_b32 ttmp2, m0
	s_waitcnt lgkmcnt(0)
	s_and_b32 s0, s0, 0x3ff
	s_delay_alu instid0(SALU_CYCLE_1) | instskip(NEXT) | instid1(SALU_CYCLE_1)
	s_bitset1_b32 s0, 10
	s_mov_b32 m0, s0
	s_sendmsg sendmsg(MSG_INTERRUPT)
	s_mov_b32 m0, ttmp2
.LBB4_1335:                             ; =>This Inner Loop Header: Depth=1
	s_sethalt 5
	s_branch .LBB4_1335
.LBB4_1336:
	s_trap 2
	s_sendmsg_rtn_b32 s0, sendmsg(MSG_RTN_GET_DOORBELL)
	s_mov_b32 ttmp2, m0
	s_waitcnt lgkmcnt(0)
	s_and_b32 s0, s0, 0x3ff
	s_delay_alu instid0(SALU_CYCLE_1) | instskip(NEXT) | instid1(SALU_CYCLE_1)
	s_bitset1_b32 s0, 10
	s_mov_b32 m0, s0
	s_sendmsg sendmsg(MSG_INTERRUPT)
	s_mov_b32 m0, ttmp2
.LBB4_1337:                             ; =>This Inner Loop Header: Depth=1
	s_sethalt 5
	s_branch .LBB4_1337
.LBB4_1338:
	s_trap 2
	s_sendmsg_rtn_b32 s0, sendmsg(MSG_RTN_GET_DOORBELL)
	s_mov_b32 ttmp2, m0
	s_waitcnt lgkmcnt(0)
	s_and_b32 s0, s0, 0x3ff
	s_delay_alu instid0(SALU_CYCLE_1) | instskip(NEXT) | instid1(SALU_CYCLE_1)
	s_bitset1_b32 s0, 10
	s_mov_b32 m0, s0
	s_sendmsg sendmsg(MSG_INTERRUPT)
	s_mov_b32 m0, ttmp2
.LBB4_1339:                             ; =>This Inner Loop Header: Depth=1
	s_sethalt 5
	s_branch .LBB4_1339
.LBB4_1340:
	s_trap 2
	s_sendmsg_rtn_b32 s0, sendmsg(MSG_RTN_GET_DOORBELL)
	s_mov_b32 ttmp2, m0
	s_waitcnt lgkmcnt(0)
	s_and_b32 s0, s0, 0x3ff
	s_delay_alu instid0(SALU_CYCLE_1) | instskip(NEXT) | instid1(SALU_CYCLE_1)
	s_bitset1_b32 s0, 10
	s_mov_b32 m0, s0
	s_sendmsg sendmsg(MSG_INTERRUPT)
	s_mov_b32 m0, ttmp2
.LBB4_1341:                             ; =>This Inner Loop Header: Depth=1
	s_sethalt 5
	s_branch .LBB4_1341
.LBB4_1342:
	s_trap 2
	s_sendmsg_rtn_b32 s0, sendmsg(MSG_RTN_GET_DOORBELL)
	s_mov_b32 ttmp2, m0
	s_waitcnt lgkmcnt(0)
	s_and_b32 s0, s0, 0x3ff
	s_delay_alu instid0(SALU_CYCLE_1) | instskip(NEXT) | instid1(SALU_CYCLE_1)
	s_bitset1_b32 s0, 10
	s_mov_b32 m0, s0
	s_sendmsg sendmsg(MSG_INTERRUPT)
	s_mov_b32 m0, ttmp2
.LBB4_1343:                             ; =>This Inner Loop Header: Depth=1
	s_sethalt 5
	s_branch .LBB4_1343
.LBB4_1344:
	s_trap 2
	s_sendmsg_rtn_b32 s0, sendmsg(MSG_RTN_GET_DOORBELL)
	s_mov_b32 ttmp2, m0
	s_waitcnt lgkmcnt(0)
	s_and_b32 s0, s0, 0x3ff
	s_delay_alu instid0(SALU_CYCLE_1) | instskip(NEXT) | instid1(SALU_CYCLE_1)
	s_bitset1_b32 s0, 10
	s_mov_b32 m0, s0
	s_sendmsg sendmsg(MSG_INTERRUPT)
	s_mov_b32 m0, ttmp2
.LBB4_1345:                             ; =>This Inner Loop Header: Depth=1
	s_sethalt 5
	s_branch .LBB4_1345
.LBB4_1346:
	s_trap 2
	s_sendmsg_rtn_b32 s0, sendmsg(MSG_RTN_GET_DOORBELL)
	s_mov_b32 ttmp2, m0
	s_waitcnt lgkmcnt(0)
	s_and_b32 s0, s0, 0x3ff
	s_delay_alu instid0(SALU_CYCLE_1) | instskip(NEXT) | instid1(SALU_CYCLE_1)
	s_bitset1_b32 s0, 10
	s_mov_b32 m0, s0
	s_sendmsg sendmsg(MSG_INTERRUPT)
	s_mov_b32 m0, ttmp2
.LBB4_1347:                             ; =>This Inner Loop Header: Depth=1
	s_sethalt 5
	s_branch .LBB4_1347
.LBB4_1348:
	s_trap 2
	s_sendmsg_rtn_b32 s0, sendmsg(MSG_RTN_GET_DOORBELL)
	s_mov_b32 ttmp2, m0
	s_waitcnt lgkmcnt(0)
	s_and_b32 s0, s0, 0x3ff
	s_delay_alu instid0(SALU_CYCLE_1) | instskip(NEXT) | instid1(SALU_CYCLE_1)
	s_bitset1_b32 s0, 10
	s_mov_b32 m0, s0
	s_sendmsg sendmsg(MSG_INTERRUPT)
	s_mov_b32 m0, ttmp2
.LBB4_1349:                             ; =>This Inner Loop Header: Depth=1
	s_sethalt 5
	s_branch .LBB4_1349
.LBB4_1350:
	s_trap 2
	s_sendmsg_rtn_b32 s0, sendmsg(MSG_RTN_GET_DOORBELL)
	s_mov_b32 ttmp2, m0
	s_waitcnt lgkmcnt(0)
	s_and_b32 s0, s0, 0x3ff
	s_delay_alu instid0(SALU_CYCLE_1) | instskip(NEXT) | instid1(SALU_CYCLE_1)
	s_bitset1_b32 s0, 10
	s_mov_b32 m0, s0
	s_sendmsg sendmsg(MSG_INTERRUPT)
	s_mov_b32 m0, ttmp2
.LBB4_1351:                             ; =>This Inner Loop Header: Depth=1
	s_sethalt 5
	s_branch .LBB4_1351
.LBB4_1352:
	s_trap 2
	s_sendmsg_rtn_b32 s0, sendmsg(MSG_RTN_GET_DOORBELL)
	s_mov_b32 ttmp2, m0
	s_waitcnt lgkmcnt(0)
	s_and_b32 s0, s0, 0x3ff
	s_delay_alu instid0(SALU_CYCLE_1) | instskip(NEXT) | instid1(SALU_CYCLE_1)
	s_bitset1_b32 s0, 10
	s_mov_b32 m0, s0
	s_sendmsg sendmsg(MSG_INTERRUPT)
	s_mov_b32 m0, ttmp2
.LBB4_1353:                             ; =>This Inner Loop Header: Depth=1
	s_sethalt 5
	s_branch .LBB4_1353
.LBB4_1354:
	s_trap 2
	s_sendmsg_rtn_b32 s0, sendmsg(MSG_RTN_GET_DOORBELL)
	s_mov_b32 ttmp2, m0
	s_waitcnt lgkmcnt(0)
	s_and_b32 s0, s0, 0x3ff
	s_delay_alu instid0(SALU_CYCLE_1) | instskip(NEXT) | instid1(SALU_CYCLE_1)
	s_bitset1_b32 s0, 10
	s_mov_b32 m0, s0
	s_sendmsg sendmsg(MSG_INTERRUPT)
	s_mov_b32 m0, ttmp2
.LBB4_1355:                             ; =>This Inner Loop Header: Depth=1
	s_sethalt 5
	s_branch .LBB4_1355
.LBB4_1356:
	s_trap 2
	s_sendmsg_rtn_b32 s0, sendmsg(MSG_RTN_GET_DOORBELL)
	s_mov_b32 ttmp2, m0
	s_waitcnt lgkmcnt(0)
	s_and_b32 s0, s0, 0x3ff
	s_delay_alu instid0(SALU_CYCLE_1) | instskip(NEXT) | instid1(SALU_CYCLE_1)
	s_bitset1_b32 s0, 10
	s_mov_b32 m0, s0
	s_sendmsg sendmsg(MSG_INTERRUPT)
	s_mov_b32 m0, ttmp2
.LBB4_1357:                             ; =>This Inner Loop Header: Depth=1
	s_sethalt 5
	s_branch .LBB4_1357
.LBB4_1358:
	s_trap 2
	s_sendmsg_rtn_b32 s0, sendmsg(MSG_RTN_GET_DOORBELL)
	s_mov_b32 ttmp2, m0
	s_waitcnt lgkmcnt(0)
	s_and_b32 s0, s0, 0x3ff
	s_delay_alu instid0(SALU_CYCLE_1) | instskip(NEXT) | instid1(SALU_CYCLE_1)
	s_bitset1_b32 s0, 10
	s_mov_b32 m0, s0
	s_sendmsg sendmsg(MSG_INTERRUPT)
	s_mov_b32 m0, ttmp2
.LBB4_1359:                             ; =>This Inner Loop Header: Depth=1
	s_sethalt 5
	s_branch .LBB4_1359
.LBB4_1360:
	s_trap 2
	s_sendmsg_rtn_b32 s0, sendmsg(MSG_RTN_GET_DOORBELL)
	s_mov_b32 ttmp2, m0
	s_waitcnt lgkmcnt(0)
	s_and_b32 s0, s0, 0x3ff
	s_delay_alu instid0(SALU_CYCLE_1) | instskip(NEXT) | instid1(SALU_CYCLE_1)
	s_bitset1_b32 s0, 10
	s_mov_b32 m0, s0
	s_sendmsg sendmsg(MSG_INTERRUPT)
	s_mov_b32 m0, ttmp2
.LBB4_1361:                             ; =>This Inner Loop Header: Depth=1
	s_sethalt 5
	s_branch .LBB4_1361
.LBB4_1362:
	s_trap 2
	s_sendmsg_rtn_b32 s0, sendmsg(MSG_RTN_GET_DOORBELL)
	s_mov_b32 ttmp2, m0
	s_waitcnt lgkmcnt(0)
	s_and_b32 s0, s0, 0x3ff
	s_delay_alu instid0(SALU_CYCLE_1) | instskip(NEXT) | instid1(SALU_CYCLE_1)
	s_bitset1_b32 s0, 10
	s_mov_b32 m0, s0
	s_sendmsg sendmsg(MSG_INTERRUPT)
	s_mov_b32 m0, ttmp2
.LBB4_1363:                             ; =>This Inner Loop Header: Depth=1
	s_sethalt 5
	s_branch .LBB4_1363
.LBB4_1364:
	s_trap 2
	s_sendmsg_rtn_b32 s0, sendmsg(MSG_RTN_GET_DOORBELL)
	s_mov_b32 ttmp2, m0
	s_waitcnt lgkmcnt(0)
	s_and_b32 s0, s0, 0x3ff
	s_delay_alu instid0(SALU_CYCLE_1) | instskip(NEXT) | instid1(SALU_CYCLE_1)
	s_bitset1_b32 s0, 10
	s_mov_b32 m0, s0
	s_sendmsg sendmsg(MSG_INTERRUPT)
	s_mov_b32 m0, ttmp2
.LBB4_1365:                             ; =>This Inner Loop Header: Depth=1
	s_sethalt 5
	s_branch .LBB4_1365
.LBB4_1366:
	s_trap 2
	s_sendmsg_rtn_b32 s0, sendmsg(MSG_RTN_GET_DOORBELL)
	s_mov_b32 ttmp2, m0
	s_waitcnt lgkmcnt(0)
	s_and_b32 s0, s0, 0x3ff
	s_delay_alu instid0(SALU_CYCLE_1) | instskip(NEXT) | instid1(SALU_CYCLE_1)
	s_bitset1_b32 s0, 10
	s_mov_b32 m0, s0
	s_sendmsg sendmsg(MSG_INTERRUPT)
	s_mov_b32 m0, ttmp2
.LBB4_1367:                             ; =>This Inner Loop Header: Depth=1
	s_sethalt 5
	s_branch .LBB4_1367
.LBB4_1368:
	s_trap 2
	s_sendmsg_rtn_b32 s0, sendmsg(MSG_RTN_GET_DOORBELL)
	s_mov_b32 ttmp2, m0
	s_waitcnt lgkmcnt(0)
	s_and_b32 s0, s0, 0x3ff
	s_delay_alu instid0(SALU_CYCLE_1) | instskip(NEXT) | instid1(SALU_CYCLE_1)
	s_bitset1_b32 s0, 10
	s_mov_b32 m0, s0
	s_sendmsg sendmsg(MSG_INTERRUPT)
	s_mov_b32 m0, ttmp2
.LBB4_1369:                             ; =>This Inner Loop Header: Depth=1
	s_sethalt 5
	s_branch .LBB4_1369
.LBB4_1370:
	s_trap 2
	s_sendmsg_rtn_b32 s0, sendmsg(MSG_RTN_GET_DOORBELL)
	s_mov_b32 ttmp2, m0
	s_waitcnt lgkmcnt(0)
	s_and_b32 s0, s0, 0x3ff
	s_delay_alu instid0(SALU_CYCLE_1) | instskip(NEXT) | instid1(SALU_CYCLE_1)
	s_bitset1_b32 s0, 10
	s_mov_b32 m0, s0
	s_sendmsg sendmsg(MSG_INTERRUPT)
	s_mov_b32 m0, ttmp2
.LBB4_1371:                             ; =>This Inner Loop Header: Depth=1
	s_sethalt 5
	s_branch .LBB4_1371
.LBB4_1372:
	s_trap 2
	s_sendmsg_rtn_b32 s0, sendmsg(MSG_RTN_GET_DOORBELL)
	s_mov_b32 ttmp2, m0
	s_waitcnt lgkmcnt(0)
	s_and_b32 s0, s0, 0x3ff
	s_delay_alu instid0(SALU_CYCLE_1) | instskip(NEXT) | instid1(SALU_CYCLE_1)
	s_bitset1_b32 s0, 10
	s_mov_b32 m0, s0
	s_sendmsg sendmsg(MSG_INTERRUPT)
	s_mov_b32 m0, ttmp2
.LBB4_1373:                             ; =>This Inner Loop Header: Depth=1
	s_sethalt 5
	s_branch .LBB4_1373
.LBB4_1374:
	s_trap 2
	s_sendmsg_rtn_b32 s0, sendmsg(MSG_RTN_GET_DOORBELL)
	s_mov_b32 ttmp2, m0
	s_waitcnt lgkmcnt(0)
	s_and_b32 s0, s0, 0x3ff
	s_delay_alu instid0(SALU_CYCLE_1) | instskip(NEXT) | instid1(SALU_CYCLE_1)
	s_bitset1_b32 s0, 10
	s_mov_b32 m0, s0
	s_sendmsg sendmsg(MSG_INTERRUPT)
	s_mov_b32 m0, ttmp2
.LBB4_1375:                             ; =>This Inner Loop Header: Depth=1
	s_sethalt 5
	s_branch .LBB4_1375
.LBB4_1376:
	s_trap 2
	s_sendmsg_rtn_b32 s0, sendmsg(MSG_RTN_GET_DOORBELL)
	s_mov_b32 ttmp2, m0
	s_waitcnt lgkmcnt(0)
	s_and_b32 s0, s0, 0x3ff
	s_delay_alu instid0(SALU_CYCLE_1) | instskip(NEXT) | instid1(SALU_CYCLE_1)
	s_bitset1_b32 s0, 10
	s_mov_b32 m0, s0
	s_sendmsg sendmsg(MSG_INTERRUPT)
	s_mov_b32 m0, ttmp2
.LBB4_1377:                             ; =>This Inner Loop Header: Depth=1
	s_sethalt 5
	s_branch .LBB4_1377
.LBB4_1378:
	s_trap 2
	s_sendmsg_rtn_b32 s0, sendmsg(MSG_RTN_GET_DOORBELL)
	s_mov_b32 ttmp2, m0
	s_waitcnt lgkmcnt(0)
	s_and_b32 s0, s0, 0x3ff
	s_delay_alu instid0(SALU_CYCLE_1) | instskip(NEXT) | instid1(SALU_CYCLE_1)
	s_bitset1_b32 s0, 10
	s_mov_b32 m0, s0
	s_sendmsg sendmsg(MSG_INTERRUPT)
	s_mov_b32 m0, ttmp2
.LBB4_1379:                             ; =>This Inner Loop Header: Depth=1
	s_sethalt 5
	s_branch .LBB4_1379
.LBB4_1380:
	s_trap 2
	s_sendmsg_rtn_b32 s0, sendmsg(MSG_RTN_GET_DOORBELL)
	s_mov_b32 ttmp2, m0
	s_waitcnt lgkmcnt(0)
	s_and_b32 s0, s0, 0x3ff
	s_delay_alu instid0(SALU_CYCLE_1) | instskip(NEXT) | instid1(SALU_CYCLE_1)
	s_bitset1_b32 s0, 10
	s_mov_b32 m0, s0
	s_sendmsg sendmsg(MSG_INTERRUPT)
	s_mov_b32 m0, ttmp2
.LBB4_1381:                             ; =>This Inner Loop Header: Depth=1
	s_sethalt 5
	s_branch .LBB4_1381
.LBB4_1382:
	s_trap 2
	s_sendmsg_rtn_b32 s0, sendmsg(MSG_RTN_GET_DOORBELL)
	s_mov_b32 ttmp2, m0
	s_waitcnt lgkmcnt(0)
	s_and_b32 s0, s0, 0x3ff
	s_delay_alu instid0(SALU_CYCLE_1) | instskip(NEXT) | instid1(SALU_CYCLE_1)
	s_bitset1_b32 s0, 10
	s_mov_b32 m0, s0
	s_sendmsg sendmsg(MSG_INTERRUPT)
	s_mov_b32 m0, ttmp2
.LBB4_1383:                             ; =>This Inner Loop Header: Depth=1
	s_sethalt 5
	s_branch .LBB4_1383
.LBB4_1384:
	s_trap 2
	s_sendmsg_rtn_b32 s0, sendmsg(MSG_RTN_GET_DOORBELL)
	s_mov_b32 ttmp2, m0
	s_waitcnt lgkmcnt(0)
	s_and_b32 s0, s0, 0x3ff
	s_delay_alu instid0(SALU_CYCLE_1) | instskip(NEXT) | instid1(SALU_CYCLE_1)
	s_bitset1_b32 s0, 10
	s_mov_b32 m0, s0
	s_sendmsg sendmsg(MSG_INTERRUPT)
	s_mov_b32 m0, ttmp2
.LBB4_1385:                             ; =>This Inner Loop Header: Depth=1
	s_sethalt 5
	s_branch .LBB4_1385
.LBB4_1386:
	s_trap 2
	s_sendmsg_rtn_b32 s0, sendmsg(MSG_RTN_GET_DOORBELL)
	s_mov_b32 ttmp2, m0
	s_waitcnt lgkmcnt(0)
	s_and_b32 s0, s0, 0x3ff
	s_delay_alu instid0(SALU_CYCLE_1) | instskip(NEXT) | instid1(SALU_CYCLE_1)
	s_bitset1_b32 s0, 10
	s_mov_b32 m0, s0
	s_sendmsg sendmsg(MSG_INTERRUPT)
	s_mov_b32 m0, ttmp2
.LBB4_1387:                             ; =>This Inner Loop Header: Depth=1
	s_sethalt 5
	s_branch .LBB4_1387
.LBB4_1388:
	s_trap 2
	s_sendmsg_rtn_b32 s0, sendmsg(MSG_RTN_GET_DOORBELL)
	s_mov_b32 ttmp2, m0
	s_waitcnt lgkmcnt(0)
	s_and_b32 s0, s0, 0x3ff
	s_delay_alu instid0(SALU_CYCLE_1) | instskip(NEXT) | instid1(SALU_CYCLE_1)
	s_bitset1_b32 s0, 10
	s_mov_b32 m0, s0
	s_sendmsg sendmsg(MSG_INTERRUPT)
	s_mov_b32 m0, ttmp2
.LBB4_1389:                             ; =>This Inner Loop Header: Depth=1
	s_sethalt 5
	s_branch .LBB4_1389
.LBB4_1390:
	s_trap 2
	s_sendmsg_rtn_b32 s0, sendmsg(MSG_RTN_GET_DOORBELL)
	s_mov_b32 ttmp2, m0
	s_waitcnt lgkmcnt(0)
	s_and_b32 s0, s0, 0x3ff
	s_delay_alu instid0(SALU_CYCLE_1) | instskip(NEXT) | instid1(SALU_CYCLE_1)
	s_bitset1_b32 s0, 10
	s_mov_b32 m0, s0
	s_sendmsg sendmsg(MSG_INTERRUPT)
	s_mov_b32 m0, ttmp2
.LBB4_1391:                             ; =>This Inner Loop Header: Depth=1
	s_sethalt 5
	s_branch .LBB4_1391
.LBB4_1392:
	s_trap 2
	s_sendmsg_rtn_b32 s0, sendmsg(MSG_RTN_GET_DOORBELL)
	s_mov_b32 ttmp2, m0
	s_waitcnt lgkmcnt(0)
	s_and_b32 s0, s0, 0x3ff
	s_delay_alu instid0(SALU_CYCLE_1) | instskip(NEXT) | instid1(SALU_CYCLE_1)
	s_bitset1_b32 s0, 10
	s_mov_b32 m0, s0
	s_sendmsg sendmsg(MSG_INTERRUPT)
	s_mov_b32 m0, ttmp2
.LBB4_1393:                             ; =>This Inner Loop Header: Depth=1
	s_sethalt 5
	s_branch .LBB4_1393
.LBB4_1394:
	s_trap 2
	s_sendmsg_rtn_b32 s0, sendmsg(MSG_RTN_GET_DOORBELL)
	s_mov_b32 ttmp2, m0
	s_waitcnt lgkmcnt(0)
	s_and_b32 s0, s0, 0x3ff
	s_delay_alu instid0(SALU_CYCLE_1) | instskip(NEXT) | instid1(SALU_CYCLE_1)
	s_bitset1_b32 s0, 10
	s_mov_b32 m0, s0
	s_sendmsg sendmsg(MSG_INTERRUPT)
	s_mov_b32 m0, ttmp2
.LBB4_1395:                             ; =>This Inner Loop Header: Depth=1
	s_sethalt 5
	s_branch .LBB4_1395
.LBB4_1396:
	s_trap 2
	s_sendmsg_rtn_b32 s0, sendmsg(MSG_RTN_GET_DOORBELL)
	s_mov_b32 ttmp2, m0
	s_waitcnt lgkmcnt(0)
	s_and_b32 s0, s0, 0x3ff
	s_delay_alu instid0(SALU_CYCLE_1) | instskip(NEXT) | instid1(SALU_CYCLE_1)
	s_bitset1_b32 s0, 10
	s_mov_b32 m0, s0
	s_sendmsg sendmsg(MSG_INTERRUPT)
	s_mov_b32 m0, ttmp2
.LBB4_1397:                             ; =>This Inner Loop Header: Depth=1
	s_sethalt 5
	s_branch .LBB4_1397
.LBB4_1398:
	s_trap 2
	s_sendmsg_rtn_b32 s0, sendmsg(MSG_RTN_GET_DOORBELL)
	s_mov_b32 ttmp2, m0
	s_waitcnt lgkmcnt(0)
	s_and_b32 s0, s0, 0x3ff
	s_delay_alu instid0(SALU_CYCLE_1) | instskip(NEXT) | instid1(SALU_CYCLE_1)
	s_bitset1_b32 s0, 10
	s_mov_b32 m0, s0
	s_sendmsg sendmsg(MSG_INTERRUPT)
	s_mov_b32 m0, ttmp2
.LBB4_1399:                             ; =>This Inner Loop Header: Depth=1
	s_sethalt 5
	s_branch .LBB4_1399
.LBB4_1400:
	s_trap 2
	s_sendmsg_rtn_b32 s0, sendmsg(MSG_RTN_GET_DOORBELL)
	s_mov_b32 ttmp2, m0
	s_waitcnt lgkmcnt(0)
	s_and_b32 s0, s0, 0x3ff
	s_delay_alu instid0(SALU_CYCLE_1) | instskip(NEXT) | instid1(SALU_CYCLE_1)
	s_bitset1_b32 s0, 10
	s_mov_b32 m0, s0
	s_sendmsg sendmsg(MSG_INTERRUPT)
	s_mov_b32 m0, ttmp2
.LBB4_1401:                             ; =>This Inner Loop Header: Depth=1
	s_sethalt 5
	s_branch .LBB4_1401
.LBB4_1402:
	s_trap 2
	s_sendmsg_rtn_b32 s0, sendmsg(MSG_RTN_GET_DOORBELL)
	s_mov_b32 ttmp2, m0
	s_waitcnt lgkmcnt(0)
	s_and_b32 s0, s0, 0x3ff
	s_delay_alu instid0(SALU_CYCLE_1) | instskip(NEXT) | instid1(SALU_CYCLE_1)
	s_bitset1_b32 s0, 10
	s_mov_b32 m0, s0
	s_sendmsg sendmsg(MSG_INTERRUPT)
	s_mov_b32 m0, ttmp2
.LBB4_1403:                             ; =>This Inner Loop Header: Depth=1
	s_sethalt 5
	s_branch .LBB4_1403
.LBB4_1404:
	s_trap 2
	s_sendmsg_rtn_b32 s0, sendmsg(MSG_RTN_GET_DOORBELL)
	s_mov_b32 ttmp2, m0
	s_waitcnt lgkmcnt(0)
	s_and_b32 s0, s0, 0x3ff
	s_delay_alu instid0(SALU_CYCLE_1) | instskip(NEXT) | instid1(SALU_CYCLE_1)
	s_bitset1_b32 s0, 10
	s_mov_b32 m0, s0
	s_sendmsg sendmsg(MSG_INTERRUPT)
	s_mov_b32 m0, ttmp2
.LBB4_1405:                             ; =>This Inner Loop Header: Depth=1
	s_sethalt 5
	s_branch .LBB4_1405
.LBB4_1406:
	s_trap 2
	s_sendmsg_rtn_b32 s0, sendmsg(MSG_RTN_GET_DOORBELL)
	s_mov_b32 ttmp2, m0
	s_waitcnt lgkmcnt(0)
	s_and_b32 s0, s0, 0x3ff
	s_delay_alu instid0(SALU_CYCLE_1) | instskip(NEXT) | instid1(SALU_CYCLE_1)
	s_bitset1_b32 s0, 10
	s_mov_b32 m0, s0
	s_sendmsg sendmsg(MSG_INTERRUPT)
	s_mov_b32 m0, ttmp2
.LBB4_1407:                             ; =>This Inner Loop Header: Depth=1
	s_sethalt 5
	s_branch .LBB4_1407
.LBB4_1408:
	s_trap 2
	s_sendmsg_rtn_b32 s0, sendmsg(MSG_RTN_GET_DOORBELL)
	s_mov_b32 ttmp2, m0
	s_waitcnt lgkmcnt(0)
	s_and_b32 s0, s0, 0x3ff
	s_delay_alu instid0(SALU_CYCLE_1) | instskip(NEXT) | instid1(SALU_CYCLE_1)
	s_bitset1_b32 s0, 10
	s_mov_b32 m0, s0
	s_sendmsg sendmsg(MSG_INTERRUPT)
	s_mov_b32 m0, ttmp2
.LBB4_1409:                             ; =>This Inner Loop Header: Depth=1
	s_sethalt 5
	s_branch .LBB4_1409
.LBB4_1410:
	s_trap 2
	s_sendmsg_rtn_b32 s0, sendmsg(MSG_RTN_GET_DOORBELL)
	s_mov_b32 ttmp2, m0
	s_waitcnt lgkmcnt(0)
	s_and_b32 s0, s0, 0x3ff
	s_delay_alu instid0(SALU_CYCLE_1) | instskip(NEXT) | instid1(SALU_CYCLE_1)
	s_bitset1_b32 s0, 10
	s_mov_b32 m0, s0
	s_sendmsg sendmsg(MSG_INTERRUPT)
	s_mov_b32 m0, ttmp2
.LBB4_1411:                             ; =>This Inner Loop Header: Depth=1
	s_sethalt 5
	s_branch .LBB4_1411
.LBB4_1412:
	s_trap 2
	s_sendmsg_rtn_b32 s0, sendmsg(MSG_RTN_GET_DOORBELL)
	s_mov_b32 ttmp2, m0
	s_waitcnt lgkmcnt(0)
	s_and_b32 s0, s0, 0x3ff
	s_delay_alu instid0(SALU_CYCLE_1) | instskip(NEXT) | instid1(SALU_CYCLE_1)
	s_bitset1_b32 s0, 10
	s_mov_b32 m0, s0
	s_sendmsg sendmsg(MSG_INTERRUPT)
	s_mov_b32 m0, ttmp2
.LBB4_1413:                             ; =>This Inner Loop Header: Depth=1
	s_sethalt 5
	s_branch .LBB4_1413
.LBB4_1414:
	s_trap 2
	s_sendmsg_rtn_b32 s0, sendmsg(MSG_RTN_GET_DOORBELL)
	s_mov_b32 ttmp2, m0
	s_waitcnt lgkmcnt(0)
	s_and_b32 s0, s0, 0x3ff
	s_delay_alu instid0(SALU_CYCLE_1) | instskip(NEXT) | instid1(SALU_CYCLE_1)
	s_bitset1_b32 s0, 10
	s_mov_b32 m0, s0
	s_sendmsg sendmsg(MSG_INTERRUPT)
	s_mov_b32 m0, ttmp2
.LBB4_1415:                             ; =>This Inner Loop Header: Depth=1
	s_sethalt 5
	s_branch .LBB4_1415
.LBB4_1416:
	s_trap 2
	s_sendmsg_rtn_b32 s0, sendmsg(MSG_RTN_GET_DOORBELL)
	s_mov_b32 ttmp2, m0
	s_waitcnt lgkmcnt(0)
	s_and_b32 s0, s0, 0x3ff
	s_delay_alu instid0(SALU_CYCLE_1) | instskip(NEXT) | instid1(SALU_CYCLE_1)
	s_bitset1_b32 s0, 10
	s_mov_b32 m0, s0
	s_sendmsg sendmsg(MSG_INTERRUPT)
	s_mov_b32 m0, ttmp2
.LBB4_1417:                             ; =>This Inner Loop Header: Depth=1
	s_sethalt 5
	s_branch .LBB4_1417
.LBB4_1418:
	s_trap 2
	s_sendmsg_rtn_b32 s0, sendmsg(MSG_RTN_GET_DOORBELL)
	s_mov_b32 ttmp2, m0
	s_waitcnt lgkmcnt(0)
	s_and_b32 s0, s0, 0x3ff
	s_delay_alu instid0(SALU_CYCLE_1) | instskip(NEXT) | instid1(SALU_CYCLE_1)
	s_bitset1_b32 s0, 10
	s_mov_b32 m0, s0
	s_sendmsg sendmsg(MSG_INTERRUPT)
	s_mov_b32 m0, ttmp2
.LBB4_1419:                             ; =>This Inner Loop Header: Depth=1
	s_sethalt 5
	s_branch .LBB4_1419
.LBB4_1420:
	s_trap 2
	s_sendmsg_rtn_b32 s0, sendmsg(MSG_RTN_GET_DOORBELL)
	s_mov_b32 ttmp2, m0
	s_waitcnt lgkmcnt(0)
	s_and_b32 s0, s0, 0x3ff
	s_delay_alu instid0(SALU_CYCLE_1) | instskip(NEXT) | instid1(SALU_CYCLE_1)
	s_bitset1_b32 s0, 10
	s_mov_b32 m0, s0
	s_sendmsg sendmsg(MSG_INTERRUPT)
	s_mov_b32 m0, ttmp2
.LBB4_1421:                             ; =>This Inner Loop Header: Depth=1
	s_sethalt 5
	s_branch .LBB4_1421
.LBB4_1422:
	s_trap 2
	s_sendmsg_rtn_b32 s0, sendmsg(MSG_RTN_GET_DOORBELL)
	s_mov_b32 ttmp2, m0
	s_waitcnt lgkmcnt(0)
	s_and_b32 s0, s0, 0x3ff
	s_delay_alu instid0(SALU_CYCLE_1) | instskip(NEXT) | instid1(SALU_CYCLE_1)
	s_bitset1_b32 s0, 10
	s_mov_b32 m0, s0
	s_sendmsg sendmsg(MSG_INTERRUPT)
	s_mov_b32 m0, ttmp2
.LBB4_1423:                             ; =>This Inner Loop Header: Depth=1
	s_sethalt 5
	s_branch .LBB4_1423
.LBB4_1424:
	s_trap 2
	s_sendmsg_rtn_b32 s0, sendmsg(MSG_RTN_GET_DOORBELL)
	s_mov_b32 ttmp2, m0
	s_waitcnt lgkmcnt(0)
	s_and_b32 s0, s0, 0x3ff
	s_delay_alu instid0(SALU_CYCLE_1) | instskip(NEXT) | instid1(SALU_CYCLE_1)
	s_bitset1_b32 s0, 10
	s_mov_b32 m0, s0
	s_sendmsg sendmsg(MSG_INTERRUPT)
	s_mov_b32 m0, ttmp2
.LBB4_1425:                             ; =>This Inner Loop Header: Depth=1
	s_sethalt 5
	s_branch .LBB4_1425
.LBB4_1426:
	s_trap 2
	s_sendmsg_rtn_b32 s0, sendmsg(MSG_RTN_GET_DOORBELL)
	s_mov_b32 ttmp2, m0
	s_waitcnt lgkmcnt(0)
	s_and_b32 s0, s0, 0x3ff
	s_delay_alu instid0(SALU_CYCLE_1) | instskip(NEXT) | instid1(SALU_CYCLE_1)
	s_bitset1_b32 s0, 10
	s_mov_b32 m0, s0
	s_sendmsg sendmsg(MSG_INTERRUPT)
	s_mov_b32 m0, ttmp2
.LBB4_1427:                             ; =>This Inner Loop Header: Depth=1
	s_sethalt 5
	s_branch .LBB4_1427
.LBB4_1428:
	s_trap 2
	s_sendmsg_rtn_b32 s0, sendmsg(MSG_RTN_GET_DOORBELL)
	s_mov_b32 ttmp2, m0
	s_waitcnt lgkmcnt(0)
	s_and_b32 s0, s0, 0x3ff
	s_delay_alu instid0(SALU_CYCLE_1) | instskip(NEXT) | instid1(SALU_CYCLE_1)
	s_bitset1_b32 s0, 10
	s_mov_b32 m0, s0
	s_sendmsg sendmsg(MSG_INTERRUPT)
	s_mov_b32 m0, ttmp2
.LBB4_1429:                             ; =>This Inner Loop Header: Depth=1
	s_sethalt 5
	s_branch .LBB4_1429
.LBB4_1430:
	s_or_b32 exec_lo, exec_lo, s4
	s_and_saveexec_b32 s4, s5
	s_delay_alu instid0(SALU_CYCLE_1)
	s_xor_b32 s4, exec_lo, s4
	s_cbranch_execz .LBB4_1432
; %bb.1431:
	v_mov_b32_e32 v0, 1
	ds_store_b32 v0, v0
	s_cbranch_execnz .LBB4_1529
.LBB4_1432:
	s_or_b32 exec_lo, exec_lo, s3
	;;#ASMSTART
	s_wakeup
	;;#ASMEND
.LBB4_1433:
	s_or_b32 exec_lo, exec_lo, s2
.LBB4_1434:
	s_and_not1_saveexec_b32 s1, s1
	s_cbranch_execz .LBB4_1436
; %bb.1435:
	s_waitcnt lgkmcnt(0)
	s_waitcnt_vscnt null, 0x0
	buffer_gl1_inv
	buffer_gl0_inv
	s_barrier
.LBB4_1436:
	s_or_b32 exec_lo, exec_lo, s0
.LBB4_1437:
	s_and_not1_saveexec_b32 s22, s20
	s_cbranch_execz .LBB4_1439
; %bb.1438:
	s_getpc_b64 s[0:1]
	s_add_u32 s0, s0, __PRETTY_FUNCTION__._ZN10PrimitivesIa7FuncSumIaE12FanSymmetricILi1EELi0E11ProtoSimpleILi1ELi1ELi0ELi1ELi0ELi0EELi0ELb0ELi0ELi0ELi0EEC2EiiPKiS8_PKvPvmhhhP15ncclDevWorkCollP14ncclDevWorkP2pii@rel32@lo+4
	s_addc_u32 s1, s1, __PRETTY_FUNCTION__._ZN10PrimitivesIa7FuncSumIaE12FanSymmetricILi1EELi0E11ProtoSimpleILi1ELi1ELi0ELi1ELi0ELi0EELi0ELb0ELi0ELi0ELi0EEC2EiiPKiS8_PKvPvmhhhP15ncclDevWorkCollP14ncclDevWorkP2pii@rel32@hi+12
	s_delay_alu instid0(SALU_CYCLE_1) | instskip(SKIP_3) | instid1(SALU_CYCLE_1)
	v_dual_mov_b32 v0, s0 :: v_dual_mov_b32 v1, s1
	s_getpc_b64 s[2:3]
	s_add_u32 s2, s2, __assert_fail@rel32@lo+4
	s_addc_u32 s3, s3, __assert_fail@rel32@hi+12
	s_swappc_b64 s[30:31], s[2:3]
	; divergent unreachable
.LBB4_1439:
	s_or_b32 exec_lo, exec_lo, s22
.LBB4_1440:
	s_delay_alu instid0(SALU_CYCLE_1)
	s_or_b32 exec_lo, exec_lo, s21
	scratch_load_b32 v40, off, s33          ; 4-byte Folded Reload
	v_readlane_b32 s30, v41, 7
	v_readlane_b32 s31, v41, 8
	;; [unrolled: 1-line block ×10, first 2 shown]
	s_or_saveexec_b32 s1, -1
	s_clause 0x1
	scratch_load_b32 v41, off, s33 offset:4
	scratch_load_b32 v42, off, s33 offset:8
	s_mov_b32 exec_lo, s1
	s_add_i32 s32, s32, -16
	s_mov_b32 s33, s0
	s_waitcnt vmcnt(0) lgkmcnt(0)
	s_setpc_b64 s[30:31]
.LBB4_1441:
	s_trap 2
	s_sendmsg_rtn_b32 s0, sendmsg(MSG_RTN_GET_DOORBELL)
	s_mov_b32 ttmp2, m0
	s_waitcnt lgkmcnt(0)
	s_and_b32 s0, s0, 0x3ff
	s_delay_alu instid0(SALU_CYCLE_1) | instskip(NEXT) | instid1(SALU_CYCLE_1)
	s_bitset1_b32 s0, 10
	s_mov_b32 m0, s0
	s_sendmsg sendmsg(MSG_INTERRUPT)
	s_mov_b32 m0, ttmp2
.LBB4_1442:                             ; =>This Inner Loop Header: Depth=1
	s_sethalt 5
	s_branch .LBB4_1442
.LBB4_1443:
	s_trap 2
	s_sendmsg_rtn_b32 s0, sendmsg(MSG_RTN_GET_DOORBELL)
	s_mov_b32 ttmp2, m0
	s_waitcnt lgkmcnt(0)
	s_and_b32 s0, s0, 0x3ff
	s_delay_alu instid0(SALU_CYCLE_1) | instskip(NEXT) | instid1(SALU_CYCLE_1)
	s_bitset1_b32 s0, 10
	s_mov_b32 m0, s0
	s_sendmsg sendmsg(MSG_INTERRUPT)
	s_mov_b32 m0, ttmp2
.LBB4_1444:                             ; =>This Inner Loop Header: Depth=1
	s_sethalt 5
	s_branch .LBB4_1444
.LBB4_1445:
	s_trap 2
	s_sendmsg_rtn_b32 s0, sendmsg(MSG_RTN_GET_DOORBELL)
	s_mov_b32 ttmp2, m0
	s_waitcnt lgkmcnt(0)
	s_and_b32 s0, s0, 0x3ff
	s_delay_alu instid0(SALU_CYCLE_1) | instskip(NEXT) | instid1(SALU_CYCLE_1)
	s_bitset1_b32 s0, 10
	s_mov_b32 m0, s0
	s_sendmsg sendmsg(MSG_INTERRUPT)
	s_mov_b32 m0, ttmp2
.LBB4_1446:                             ; =>This Inner Loop Header: Depth=1
	s_sethalt 5
	s_branch .LBB4_1446
.LBB4_1447:
	s_trap 2
	s_sendmsg_rtn_b32 s0, sendmsg(MSG_RTN_GET_DOORBELL)
	s_mov_b32 ttmp2, m0
	s_waitcnt lgkmcnt(0)
	s_and_b32 s0, s0, 0x3ff
	s_delay_alu instid0(SALU_CYCLE_1) | instskip(NEXT) | instid1(SALU_CYCLE_1)
	s_bitset1_b32 s0, 10
	s_mov_b32 m0, s0
	s_sendmsg sendmsg(MSG_INTERRUPT)
	s_mov_b32 m0, ttmp2
.LBB4_1448:                             ; =>This Inner Loop Header: Depth=1
	s_sethalt 5
	s_branch .LBB4_1448
.LBB4_1449:
	s_trap 2
	s_sendmsg_rtn_b32 s0, sendmsg(MSG_RTN_GET_DOORBELL)
	s_mov_b32 ttmp2, m0
	s_waitcnt lgkmcnt(0)
	s_and_b32 s0, s0, 0x3ff
	s_delay_alu instid0(SALU_CYCLE_1) | instskip(NEXT) | instid1(SALU_CYCLE_1)
	s_bitset1_b32 s0, 10
	s_mov_b32 m0, s0
	s_sendmsg sendmsg(MSG_INTERRUPT)
	s_mov_b32 m0, ttmp2
.LBB4_1450:                             ; =>This Inner Loop Header: Depth=1
	s_sethalt 5
	s_branch .LBB4_1450
.LBB4_1451:
	s_trap 2
	s_sendmsg_rtn_b32 s0, sendmsg(MSG_RTN_GET_DOORBELL)
	s_mov_b32 ttmp2, m0
	s_waitcnt lgkmcnt(0)
	s_and_b32 s0, s0, 0x3ff
	s_delay_alu instid0(SALU_CYCLE_1) | instskip(NEXT) | instid1(SALU_CYCLE_1)
	s_bitset1_b32 s0, 10
	s_mov_b32 m0, s0
	s_sendmsg sendmsg(MSG_INTERRUPT)
	s_mov_b32 m0, ttmp2
.LBB4_1452:                             ; =>This Inner Loop Header: Depth=1
	s_sethalt 5
	s_branch .LBB4_1452
.LBB4_1453:
	s_trap 2
	s_sendmsg_rtn_b32 s0, sendmsg(MSG_RTN_GET_DOORBELL)
	s_mov_b32 ttmp2, m0
	s_waitcnt lgkmcnt(0)
	s_and_b32 s0, s0, 0x3ff
	s_delay_alu instid0(SALU_CYCLE_1) | instskip(NEXT) | instid1(SALU_CYCLE_1)
	s_bitset1_b32 s0, 10
	s_mov_b32 m0, s0
	s_sendmsg sendmsg(MSG_INTERRUPT)
	s_mov_b32 m0, ttmp2
.LBB4_1454:                             ; =>This Inner Loop Header: Depth=1
	s_sethalt 5
	s_branch .LBB4_1454
.LBB4_1455:
	s_trap 2
	s_sendmsg_rtn_b32 s0, sendmsg(MSG_RTN_GET_DOORBELL)
	s_mov_b32 ttmp2, m0
	s_waitcnt lgkmcnt(0)
	s_and_b32 s0, s0, 0x3ff
	s_delay_alu instid0(SALU_CYCLE_1) | instskip(NEXT) | instid1(SALU_CYCLE_1)
	s_bitset1_b32 s0, 10
	s_mov_b32 m0, s0
	s_sendmsg sendmsg(MSG_INTERRUPT)
	s_mov_b32 m0, ttmp2
.LBB4_1456:                             ; =>This Inner Loop Header: Depth=1
	s_sethalt 5
	s_branch .LBB4_1456
.LBB4_1457:
	s_trap 2
	s_sendmsg_rtn_b32 s0, sendmsg(MSG_RTN_GET_DOORBELL)
	s_mov_b32 ttmp2, m0
	s_waitcnt lgkmcnt(0)
	s_and_b32 s0, s0, 0x3ff
	s_delay_alu instid0(SALU_CYCLE_1) | instskip(NEXT) | instid1(SALU_CYCLE_1)
	s_bitset1_b32 s0, 10
	s_mov_b32 m0, s0
	s_sendmsg sendmsg(MSG_INTERRUPT)
	s_mov_b32 m0, ttmp2
.LBB4_1458:                             ; =>This Inner Loop Header: Depth=1
	s_sethalt 5
	s_branch .LBB4_1458
.LBB4_1459:
	s_trap 2
	s_sendmsg_rtn_b32 s0, sendmsg(MSG_RTN_GET_DOORBELL)
	s_mov_b32 ttmp2, m0
	s_waitcnt lgkmcnt(0)
	s_and_b32 s0, s0, 0x3ff
	s_delay_alu instid0(SALU_CYCLE_1) | instskip(NEXT) | instid1(SALU_CYCLE_1)
	s_bitset1_b32 s0, 10
	s_mov_b32 m0, s0
	s_sendmsg sendmsg(MSG_INTERRUPT)
	s_mov_b32 m0, ttmp2
.LBB4_1460:                             ; =>This Inner Loop Header: Depth=1
	s_sethalt 5
	s_branch .LBB4_1460
.LBB4_1461:
	s_trap 2
	s_sendmsg_rtn_b32 s0, sendmsg(MSG_RTN_GET_DOORBELL)
	s_mov_b32 ttmp2, m0
	s_waitcnt lgkmcnt(0)
	s_and_b32 s0, s0, 0x3ff
	s_delay_alu instid0(SALU_CYCLE_1) | instskip(NEXT) | instid1(SALU_CYCLE_1)
	s_bitset1_b32 s0, 10
	s_mov_b32 m0, s0
	s_sendmsg sendmsg(MSG_INTERRUPT)
	s_mov_b32 m0, ttmp2
.LBB4_1462:                             ; =>This Inner Loop Header: Depth=1
	s_sethalt 5
	s_branch .LBB4_1462
.LBB4_1463:
	s_trap 2
	s_sendmsg_rtn_b32 s0, sendmsg(MSG_RTN_GET_DOORBELL)
	s_mov_b32 ttmp2, m0
	s_waitcnt lgkmcnt(0)
	s_and_b32 s0, s0, 0x3ff
	s_delay_alu instid0(SALU_CYCLE_1) | instskip(NEXT) | instid1(SALU_CYCLE_1)
	s_bitset1_b32 s0, 10
	s_mov_b32 m0, s0
	s_sendmsg sendmsg(MSG_INTERRUPT)
	s_mov_b32 m0, ttmp2
.LBB4_1464:                             ; =>This Inner Loop Header: Depth=1
	s_sethalt 5
	s_branch .LBB4_1464
.LBB4_1465:
	s_trap 2
	s_sendmsg_rtn_b32 s0, sendmsg(MSG_RTN_GET_DOORBELL)
	s_mov_b32 ttmp2, m0
	s_waitcnt lgkmcnt(0)
	s_and_b32 s0, s0, 0x3ff
	s_delay_alu instid0(SALU_CYCLE_1) | instskip(NEXT) | instid1(SALU_CYCLE_1)
	s_bitset1_b32 s0, 10
	s_mov_b32 m0, s0
	s_sendmsg sendmsg(MSG_INTERRUPT)
	s_mov_b32 m0, ttmp2
.LBB4_1466:                             ; =>This Inner Loop Header: Depth=1
	s_sethalt 5
	s_branch .LBB4_1466
.LBB4_1467:
	s_trap 2
	s_sendmsg_rtn_b32 s0, sendmsg(MSG_RTN_GET_DOORBELL)
	s_mov_b32 ttmp2, m0
	s_waitcnt lgkmcnt(0)
	s_and_b32 s0, s0, 0x3ff
	s_delay_alu instid0(SALU_CYCLE_1) | instskip(NEXT) | instid1(SALU_CYCLE_1)
	s_bitset1_b32 s0, 10
	s_mov_b32 m0, s0
	s_sendmsg sendmsg(MSG_INTERRUPT)
	s_mov_b32 m0, ttmp2
.LBB4_1468:                             ; =>This Inner Loop Header: Depth=1
	s_sethalt 5
	s_branch .LBB4_1468
.LBB4_1469:
	s_trap 2
	s_sendmsg_rtn_b32 s0, sendmsg(MSG_RTN_GET_DOORBELL)
	s_mov_b32 ttmp2, m0
	s_waitcnt lgkmcnt(0)
	s_and_b32 s0, s0, 0x3ff
	s_delay_alu instid0(SALU_CYCLE_1) | instskip(NEXT) | instid1(SALU_CYCLE_1)
	s_bitset1_b32 s0, 10
	s_mov_b32 m0, s0
	s_sendmsg sendmsg(MSG_INTERRUPT)
	s_mov_b32 m0, ttmp2
.LBB4_1470:                             ; =>This Inner Loop Header: Depth=1
	s_sethalt 5
	s_branch .LBB4_1470
.LBB4_1471:
	s_trap 2
	s_sendmsg_rtn_b32 s0, sendmsg(MSG_RTN_GET_DOORBELL)
	s_mov_b32 ttmp2, m0
	s_waitcnt lgkmcnt(0)
	s_and_b32 s0, s0, 0x3ff
	s_delay_alu instid0(SALU_CYCLE_1) | instskip(NEXT) | instid1(SALU_CYCLE_1)
	s_bitset1_b32 s0, 10
	s_mov_b32 m0, s0
	s_sendmsg sendmsg(MSG_INTERRUPT)
	s_mov_b32 m0, ttmp2
.LBB4_1472:                             ; =>This Inner Loop Header: Depth=1
	s_sethalt 5
	s_branch .LBB4_1472
.LBB4_1473:
	s_trap 2
	s_sendmsg_rtn_b32 s0, sendmsg(MSG_RTN_GET_DOORBELL)
	s_mov_b32 ttmp2, m0
	s_waitcnt lgkmcnt(0)
	s_and_b32 s0, s0, 0x3ff
	s_delay_alu instid0(SALU_CYCLE_1) | instskip(NEXT) | instid1(SALU_CYCLE_1)
	s_bitset1_b32 s0, 10
	s_mov_b32 m0, s0
	s_sendmsg sendmsg(MSG_INTERRUPT)
	s_mov_b32 m0, ttmp2
.LBB4_1474:                             ; =>This Inner Loop Header: Depth=1
	s_sethalt 5
	s_branch .LBB4_1474
.LBB4_1475:
	s_trap 2
	s_sendmsg_rtn_b32 s0, sendmsg(MSG_RTN_GET_DOORBELL)
	s_mov_b32 ttmp2, m0
	s_waitcnt lgkmcnt(0)
	s_and_b32 s0, s0, 0x3ff
	s_delay_alu instid0(SALU_CYCLE_1) | instskip(NEXT) | instid1(SALU_CYCLE_1)
	s_bitset1_b32 s0, 10
	s_mov_b32 m0, s0
	s_sendmsg sendmsg(MSG_INTERRUPT)
	s_mov_b32 m0, ttmp2
.LBB4_1476:                             ; =>This Inner Loop Header: Depth=1
	s_sethalt 5
	s_branch .LBB4_1476
.LBB4_1477:
	s_trap 2
	s_sendmsg_rtn_b32 s0, sendmsg(MSG_RTN_GET_DOORBELL)
	s_mov_b32 ttmp2, m0
	s_waitcnt lgkmcnt(0)
	s_and_b32 s0, s0, 0x3ff
	s_delay_alu instid0(SALU_CYCLE_1) | instskip(NEXT) | instid1(SALU_CYCLE_1)
	s_bitset1_b32 s0, 10
	s_mov_b32 m0, s0
	s_sendmsg sendmsg(MSG_INTERRUPT)
	s_mov_b32 m0, ttmp2
.LBB4_1478:                             ; =>This Inner Loop Header: Depth=1
	s_sethalt 5
	s_branch .LBB4_1478
.LBB4_1479:
	s_trap 2
	s_sendmsg_rtn_b32 s0, sendmsg(MSG_RTN_GET_DOORBELL)
	s_mov_b32 ttmp2, m0
	s_waitcnt lgkmcnt(0)
	s_and_b32 s0, s0, 0x3ff
	s_delay_alu instid0(SALU_CYCLE_1) | instskip(NEXT) | instid1(SALU_CYCLE_1)
	s_bitset1_b32 s0, 10
	s_mov_b32 m0, s0
	s_sendmsg sendmsg(MSG_INTERRUPT)
	s_mov_b32 m0, ttmp2
.LBB4_1480:                             ; =>This Inner Loop Header: Depth=1
	s_sethalt 5
	s_branch .LBB4_1480
.LBB4_1481:
	s_trap 2
	s_sendmsg_rtn_b32 s0, sendmsg(MSG_RTN_GET_DOORBELL)
	s_mov_b32 ttmp2, m0
	s_waitcnt lgkmcnt(0)
	s_and_b32 s0, s0, 0x3ff
	s_delay_alu instid0(SALU_CYCLE_1) | instskip(NEXT) | instid1(SALU_CYCLE_1)
	s_bitset1_b32 s0, 10
	s_mov_b32 m0, s0
	s_sendmsg sendmsg(MSG_INTERRUPT)
	s_mov_b32 m0, ttmp2
.LBB4_1482:                             ; =>This Inner Loop Header: Depth=1
	s_sethalt 5
	s_branch .LBB4_1482
.LBB4_1483:
	s_trap 2
	s_sendmsg_rtn_b32 s0, sendmsg(MSG_RTN_GET_DOORBELL)
	s_mov_b32 ttmp2, m0
	s_waitcnt lgkmcnt(0)
	s_and_b32 s0, s0, 0x3ff
	s_delay_alu instid0(SALU_CYCLE_1) | instskip(NEXT) | instid1(SALU_CYCLE_1)
	s_bitset1_b32 s0, 10
	s_mov_b32 m0, s0
	s_sendmsg sendmsg(MSG_INTERRUPT)
	s_mov_b32 m0, ttmp2
.LBB4_1484:                             ; =>This Inner Loop Header: Depth=1
	s_sethalt 5
	s_branch .LBB4_1484
.LBB4_1485:
	s_trap 2
	s_sendmsg_rtn_b32 s0, sendmsg(MSG_RTN_GET_DOORBELL)
	s_mov_b32 ttmp2, m0
	s_waitcnt lgkmcnt(0)
	s_and_b32 s0, s0, 0x3ff
	s_delay_alu instid0(SALU_CYCLE_1) | instskip(NEXT) | instid1(SALU_CYCLE_1)
	s_bitset1_b32 s0, 10
	s_mov_b32 m0, s0
	s_sendmsg sendmsg(MSG_INTERRUPT)
	s_mov_b32 m0, ttmp2
.LBB4_1486:                             ; =>This Inner Loop Header: Depth=1
	s_sethalt 5
	s_branch .LBB4_1486
.LBB4_1487:
	s_trap 2
	s_sendmsg_rtn_b32 s0, sendmsg(MSG_RTN_GET_DOORBELL)
	s_mov_b32 ttmp2, m0
	s_waitcnt lgkmcnt(0)
	s_and_b32 s0, s0, 0x3ff
	s_delay_alu instid0(SALU_CYCLE_1) | instskip(NEXT) | instid1(SALU_CYCLE_1)
	s_bitset1_b32 s0, 10
	s_mov_b32 m0, s0
	s_sendmsg sendmsg(MSG_INTERRUPT)
	s_mov_b32 m0, ttmp2
.LBB4_1488:                             ; =>This Inner Loop Header: Depth=1
	s_sethalt 5
	s_branch .LBB4_1488
.LBB4_1489:
	s_trap 2
	s_sendmsg_rtn_b32 s0, sendmsg(MSG_RTN_GET_DOORBELL)
	s_mov_b32 ttmp2, m0
	s_waitcnt lgkmcnt(0)
	s_and_b32 s0, s0, 0x3ff
	s_delay_alu instid0(SALU_CYCLE_1) | instskip(NEXT) | instid1(SALU_CYCLE_1)
	s_bitset1_b32 s0, 10
	s_mov_b32 m0, s0
	s_sendmsg sendmsg(MSG_INTERRUPT)
	s_mov_b32 m0, ttmp2
.LBB4_1490:                             ; =>This Inner Loop Header: Depth=1
	s_sethalt 5
	s_branch .LBB4_1490
.LBB4_1491:
	s_trap 2
	s_sendmsg_rtn_b32 s0, sendmsg(MSG_RTN_GET_DOORBELL)
	s_mov_b32 ttmp2, m0
	s_waitcnt lgkmcnt(0)
	s_and_b32 s0, s0, 0x3ff
	s_delay_alu instid0(SALU_CYCLE_1) | instskip(NEXT) | instid1(SALU_CYCLE_1)
	s_bitset1_b32 s0, 10
	s_mov_b32 m0, s0
	s_sendmsg sendmsg(MSG_INTERRUPT)
	s_mov_b32 m0, ttmp2
.LBB4_1492:                             ; =>This Inner Loop Header: Depth=1
	s_sethalt 5
	s_branch .LBB4_1492
.LBB4_1493:
	s_trap 2
	s_sendmsg_rtn_b32 s0, sendmsg(MSG_RTN_GET_DOORBELL)
	s_mov_b32 ttmp2, m0
	s_waitcnt lgkmcnt(0)
	s_and_b32 s0, s0, 0x3ff
	s_delay_alu instid0(SALU_CYCLE_1) | instskip(NEXT) | instid1(SALU_CYCLE_1)
	s_bitset1_b32 s0, 10
	s_mov_b32 m0, s0
	s_sendmsg sendmsg(MSG_INTERRUPT)
	s_mov_b32 m0, ttmp2
.LBB4_1494:                             ; =>This Inner Loop Header: Depth=1
	s_sethalt 5
	s_branch .LBB4_1494
.LBB4_1495:
	s_trap 2
	s_sendmsg_rtn_b32 s0, sendmsg(MSG_RTN_GET_DOORBELL)
	s_mov_b32 ttmp2, m0
	s_waitcnt lgkmcnt(0)
	s_and_b32 s0, s0, 0x3ff
	s_delay_alu instid0(SALU_CYCLE_1) | instskip(NEXT) | instid1(SALU_CYCLE_1)
	s_bitset1_b32 s0, 10
	s_mov_b32 m0, s0
	s_sendmsg sendmsg(MSG_INTERRUPT)
	s_mov_b32 m0, ttmp2
.LBB4_1496:                             ; =>This Inner Loop Header: Depth=1
	s_sethalt 5
	s_branch .LBB4_1496
.LBB4_1497:
	s_trap 2
	s_sendmsg_rtn_b32 s0, sendmsg(MSG_RTN_GET_DOORBELL)
	s_mov_b32 ttmp2, m0
	s_waitcnt lgkmcnt(0)
	s_and_b32 s0, s0, 0x3ff
	s_delay_alu instid0(SALU_CYCLE_1) | instskip(NEXT) | instid1(SALU_CYCLE_1)
	s_bitset1_b32 s0, 10
	s_mov_b32 m0, s0
	s_sendmsg sendmsg(MSG_INTERRUPT)
	s_mov_b32 m0, ttmp2
.LBB4_1498:                             ; =>This Inner Loop Header: Depth=1
	s_sethalt 5
	s_branch .LBB4_1498
.LBB4_1499:
	s_trap 2
	s_sendmsg_rtn_b32 s0, sendmsg(MSG_RTN_GET_DOORBELL)
	s_mov_b32 ttmp2, m0
	s_waitcnt lgkmcnt(0)
	s_and_b32 s0, s0, 0x3ff
	s_delay_alu instid0(SALU_CYCLE_1) | instskip(NEXT) | instid1(SALU_CYCLE_1)
	s_bitset1_b32 s0, 10
	s_mov_b32 m0, s0
	s_sendmsg sendmsg(MSG_INTERRUPT)
	s_mov_b32 m0, ttmp2
.LBB4_1500:                             ; =>This Inner Loop Header: Depth=1
	s_sethalt 5
	s_branch .LBB4_1500
.LBB4_1501:
	s_trap 2
	s_sendmsg_rtn_b32 s0, sendmsg(MSG_RTN_GET_DOORBELL)
	s_mov_b32 ttmp2, m0
	s_waitcnt lgkmcnt(0)
	s_and_b32 s0, s0, 0x3ff
	s_delay_alu instid0(SALU_CYCLE_1) | instskip(NEXT) | instid1(SALU_CYCLE_1)
	s_bitset1_b32 s0, 10
	s_mov_b32 m0, s0
	s_sendmsg sendmsg(MSG_INTERRUPT)
	s_mov_b32 m0, ttmp2
.LBB4_1502:                             ; =>This Inner Loop Header: Depth=1
	s_sethalt 5
	s_branch .LBB4_1502
.LBB4_1503:
	s_trap 2
	s_sendmsg_rtn_b32 s0, sendmsg(MSG_RTN_GET_DOORBELL)
	s_mov_b32 ttmp2, m0
	s_waitcnt lgkmcnt(0)
	s_and_b32 s0, s0, 0x3ff
	s_delay_alu instid0(SALU_CYCLE_1) | instskip(NEXT) | instid1(SALU_CYCLE_1)
	s_bitset1_b32 s0, 10
	s_mov_b32 m0, s0
	s_sendmsg sendmsg(MSG_INTERRUPT)
	s_mov_b32 m0, ttmp2
.LBB4_1504:                             ; =>This Inner Loop Header: Depth=1
	s_sethalt 5
	s_branch .LBB4_1504
.LBB4_1505:
	s_trap 2
	s_sendmsg_rtn_b32 s0, sendmsg(MSG_RTN_GET_DOORBELL)
	s_mov_b32 ttmp2, m0
	s_waitcnt lgkmcnt(0)
	s_and_b32 s0, s0, 0x3ff
	s_delay_alu instid0(SALU_CYCLE_1) | instskip(NEXT) | instid1(SALU_CYCLE_1)
	s_bitset1_b32 s0, 10
	s_mov_b32 m0, s0
	s_sendmsg sendmsg(MSG_INTERRUPT)
	s_mov_b32 m0, ttmp2
.LBB4_1506:                             ; =>This Inner Loop Header: Depth=1
	s_sethalt 5
	s_branch .LBB4_1506
.LBB4_1507:
	s_trap 2
	s_sendmsg_rtn_b32 s0, sendmsg(MSG_RTN_GET_DOORBELL)
	s_mov_b32 ttmp2, m0
	s_waitcnt lgkmcnt(0)
	s_and_b32 s0, s0, 0x3ff
	s_delay_alu instid0(SALU_CYCLE_1) | instskip(NEXT) | instid1(SALU_CYCLE_1)
	s_bitset1_b32 s0, 10
	s_mov_b32 m0, s0
	s_sendmsg sendmsg(MSG_INTERRUPT)
	s_mov_b32 m0, ttmp2
.LBB4_1508:                             ; =>This Inner Loop Header: Depth=1
	s_sethalt 5
	s_branch .LBB4_1508
.LBB4_1509:
	s_trap 2
	s_sendmsg_rtn_b32 s0, sendmsg(MSG_RTN_GET_DOORBELL)
	s_mov_b32 ttmp2, m0
	s_waitcnt lgkmcnt(0)
	s_and_b32 s0, s0, 0x3ff
	s_delay_alu instid0(SALU_CYCLE_1) | instskip(NEXT) | instid1(SALU_CYCLE_1)
	s_bitset1_b32 s0, 10
	s_mov_b32 m0, s0
	s_sendmsg sendmsg(MSG_INTERRUPT)
	s_mov_b32 m0, ttmp2
.LBB4_1510:                             ; =>This Inner Loop Header: Depth=1
	s_sethalt 5
	s_branch .LBB4_1510
.LBB4_1511:
	s_trap 2
	s_sendmsg_rtn_b32 s0, sendmsg(MSG_RTN_GET_DOORBELL)
	s_mov_b32 ttmp2, m0
	s_waitcnt lgkmcnt(0)
	s_and_b32 s0, s0, 0x3ff
	s_delay_alu instid0(SALU_CYCLE_1) | instskip(NEXT) | instid1(SALU_CYCLE_1)
	s_bitset1_b32 s0, 10
	s_mov_b32 m0, s0
	s_sendmsg sendmsg(MSG_INTERRUPT)
	s_mov_b32 m0, ttmp2
.LBB4_1512:                             ; =>This Inner Loop Header: Depth=1
	s_sethalt 5
	s_branch .LBB4_1512
.LBB4_1513:
	s_trap 2
	s_sendmsg_rtn_b32 s0, sendmsg(MSG_RTN_GET_DOORBELL)
	s_mov_b32 ttmp2, m0
	s_waitcnt lgkmcnt(0)
	s_and_b32 s0, s0, 0x3ff
	s_delay_alu instid0(SALU_CYCLE_1) | instskip(NEXT) | instid1(SALU_CYCLE_1)
	s_bitset1_b32 s0, 10
	s_mov_b32 m0, s0
	s_sendmsg sendmsg(MSG_INTERRUPT)
	s_mov_b32 m0, ttmp2
.LBB4_1514:                             ; =>This Inner Loop Header: Depth=1
	s_sethalt 5
	s_branch .LBB4_1514
.LBB4_1515:
	s_trap 2
	s_sendmsg_rtn_b32 s0, sendmsg(MSG_RTN_GET_DOORBELL)
	s_mov_b32 ttmp2, m0
	s_waitcnt lgkmcnt(0)
	s_and_b32 s0, s0, 0x3ff
	s_delay_alu instid0(SALU_CYCLE_1) | instskip(NEXT) | instid1(SALU_CYCLE_1)
	s_bitset1_b32 s0, 10
	s_mov_b32 m0, s0
	s_sendmsg sendmsg(MSG_INTERRUPT)
	s_mov_b32 m0, ttmp2
.LBB4_1516:                             ; =>This Inner Loop Header: Depth=1
	s_sethalt 5
	s_branch .LBB4_1516
.LBB4_1517:
	s_trap 2
	s_sendmsg_rtn_b32 s0, sendmsg(MSG_RTN_GET_DOORBELL)
	s_mov_b32 ttmp2, m0
	s_waitcnt lgkmcnt(0)
	s_and_b32 s0, s0, 0x3ff
	s_delay_alu instid0(SALU_CYCLE_1) | instskip(NEXT) | instid1(SALU_CYCLE_1)
	s_bitset1_b32 s0, 10
	s_mov_b32 m0, s0
	s_sendmsg sendmsg(MSG_INTERRUPT)
	s_mov_b32 m0, ttmp2
.LBB4_1518:                             ; =>This Inner Loop Header: Depth=1
	s_sethalt 5
	s_branch .LBB4_1518
.LBB4_1519:
	s_trap 2
	s_sendmsg_rtn_b32 s0, sendmsg(MSG_RTN_GET_DOORBELL)
	s_mov_b32 ttmp2, m0
	s_waitcnt lgkmcnt(0)
	s_and_b32 s0, s0, 0x3ff
	s_delay_alu instid0(SALU_CYCLE_1) | instskip(NEXT) | instid1(SALU_CYCLE_1)
	s_bitset1_b32 s0, 10
	s_mov_b32 m0, s0
	s_sendmsg sendmsg(MSG_INTERRUPT)
	s_mov_b32 m0, ttmp2
.LBB4_1520:                             ; =>This Inner Loop Header: Depth=1
	s_sethalt 5
	s_branch .LBB4_1520
.LBB4_1521:
	s_trap 2
	s_sendmsg_rtn_b32 s0, sendmsg(MSG_RTN_GET_DOORBELL)
	s_mov_b32 ttmp2, m0
	s_waitcnt lgkmcnt(0)
	s_and_b32 s0, s0, 0x3ff
	s_delay_alu instid0(SALU_CYCLE_1) | instskip(NEXT) | instid1(SALU_CYCLE_1)
	s_bitset1_b32 s0, 10
	s_mov_b32 m0, s0
	s_sendmsg sendmsg(MSG_INTERRUPT)
	s_mov_b32 m0, ttmp2
.LBB4_1522:                             ; =>This Inner Loop Header: Depth=1
	s_sethalt 5
	s_branch .LBB4_1522
.LBB4_1523:
	s_trap 2
	s_sendmsg_rtn_b32 s0, sendmsg(MSG_RTN_GET_DOORBELL)
	s_mov_b32 ttmp2, m0
	s_waitcnt lgkmcnt(0)
	s_and_b32 s0, s0, 0x3ff
	s_delay_alu instid0(SALU_CYCLE_1) | instskip(NEXT) | instid1(SALU_CYCLE_1)
	s_bitset1_b32 s0, 10
	s_mov_b32 m0, s0
	s_sendmsg sendmsg(MSG_INTERRUPT)
	s_mov_b32 m0, ttmp2
.LBB4_1524:                             ; =>This Inner Loop Header: Depth=1
	s_sethalt 5
	s_branch .LBB4_1524
.LBB4_1525:
	s_trap 2
	s_sendmsg_rtn_b32 s0, sendmsg(MSG_RTN_GET_DOORBELL)
	s_mov_b32 ttmp2, m0
	s_waitcnt lgkmcnt(0)
	s_and_b32 s0, s0, 0x3ff
	s_delay_alu instid0(SALU_CYCLE_1) | instskip(NEXT) | instid1(SALU_CYCLE_1)
	s_bitset1_b32 s0, 10
	s_mov_b32 m0, s0
	s_sendmsg sendmsg(MSG_INTERRUPT)
	s_mov_b32 m0, ttmp2
.LBB4_1526:                             ; =>This Inner Loop Header: Depth=1
	s_sethalt 5
	s_branch .LBB4_1526
.LBB4_1527:
	s_trap 2
	s_sendmsg_rtn_b32 s0, sendmsg(MSG_RTN_GET_DOORBELL)
	s_mov_b32 ttmp2, m0
	s_waitcnt lgkmcnt(0)
	s_and_b32 s0, s0, 0x3ff
	s_delay_alu instid0(SALU_CYCLE_1) | instskip(NEXT) | instid1(SALU_CYCLE_1)
	s_bitset1_b32 s0, 10
	s_mov_b32 m0, s0
	s_sendmsg sendmsg(MSG_INTERRUPT)
	s_mov_b32 m0, ttmp2
.LBB4_1528:                             ; =>This Inner Loop Header: Depth=1
	s_sethalt 5
	s_branch .LBB4_1528
.LBB4_1529:
	s_trap 2
	s_sendmsg_rtn_b32 s0, sendmsg(MSG_RTN_GET_DOORBELL)
	s_mov_b32 ttmp2, m0
	s_waitcnt lgkmcnt(0)
	s_and_b32 s0, s0, 0x3ff
	s_delay_alu instid0(SALU_CYCLE_1) | instskip(NEXT) | instid1(SALU_CYCLE_1)
	s_bitset1_b32 s0, 10
	s_mov_b32 m0, s0
	s_sendmsg sendmsg(MSG_INTERRUPT)
	s_mov_b32 m0, ttmp2
.LBB4_1530:                             ; =>This Inner Loop Header: Depth=1
	s_sethalt 5
	s_branch .LBB4_1530
.LBB4_1531:
	s_trap 2
	s_sendmsg_rtn_b32 s0, sendmsg(MSG_RTN_GET_DOORBELL)
	s_mov_b32 ttmp2, m0
	s_waitcnt lgkmcnt(0)
	s_and_b32 s0, s0, 0x3ff
	s_delay_alu instid0(SALU_CYCLE_1) | instskip(NEXT) | instid1(SALU_CYCLE_1)
	s_bitset1_b32 s0, 10
	s_mov_b32 m0, s0
	s_sendmsg sendmsg(MSG_INTERRUPT)
	s_mov_b32 m0, ttmp2
.LBB4_1532:                             ; =>This Inner Loop Header: Depth=1
	s_sethalt 5
	s_branch .LBB4_1532
.LBB4_1533:
	s_trap 2
	s_sendmsg_rtn_b32 s0, sendmsg(MSG_RTN_GET_DOORBELL)
	s_mov_b32 ttmp2, m0
	s_waitcnt lgkmcnt(0)
	s_and_b32 s0, s0, 0x3ff
	s_delay_alu instid0(SALU_CYCLE_1) | instskip(NEXT) | instid1(SALU_CYCLE_1)
	s_bitset1_b32 s0, 10
	s_mov_b32 m0, s0
	s_sendmsg sendmsg(MSG_INTERRUPT)
	s_mov_b32 m0, ttmp2
.LBB4_1534:                             ; =>This Inner Loop Header: Depth=1
	s_sethalt 5
	s_branch .LBB4_1534
.LBB4_1535:
	s_trap 2
	s_sendmsg_rtn_b32 s0, sendmsg(MSG_RTN_GET_DOORBELL)
	s_mov_b32 ttmp2, m0
	s_waitcnt lgkmcnt(0)
	s_and_b32 s0, s0, 0x3ff
	s_delay_alu instid0(SALU_CYCLE_1) | instskip(NEXT) | instid1(SALU_CYCLE_1)
	s_bitset1_b32 s0, 10
	s_mov_b32 m0, s0
	s_sendmsg sendmsg(MSG_INTERRUPT)
	s_mov_b32 m0, ttmp2
.LBB4_1536:                             ; =>This Inner Loop Header: Depth=1
	s_sethalt 5
	s_branch .LBB4_1536
.LBB4_1537:
	s_trap 2
	s_sendmsg_rtn_b32 s0, sendmsg(MSG_RTN_GET_DOORBELL)
	s_mov_b32 ttmp2, m0
	s_waitcnt lgkmcnt(0)
	s_and_b32 s0, s0, 0x3ff
	s_delay_alu instid0(SALU_CYCLE_1) | instskip(NEXT) | instid1(SALU_CYCLE_1)
	s_bitset1_b32 s0, 10
	s_mov_b32 m0, s0
	s_sendmsg sendmsg(MSG_INTERRUPT)
	s_mov_b32 m0, ttmp2
.LBB4_1538:                             ; =>This Inner Loop Header: Depth=1
	s_sethalt 5
	s_branch .LBB4_1538
.LBB4_1539:
	s_trap 2
	s_sendmsg_rtn_b32 s0, sendmsg(MSG_RTN_GET_DOORBELL)
	s_mov_b32 ttmp2, m0
	s_waitcnt lgkmcnt(0)
	s_and_b32 s0, s0, 0x3ff
	s_delay_alu instid0(SALU_CYCLE_1) | instskip(NEXT) | instid1(SALU_CYCLE_1)
	s_bitset1_b32 s0, 10
	s_mov_b32 m0, s0
	s_sendmsg sendmsg(MSG_INTERRUPT)
	s_mov_b32 m0, ttmp2
.LBB4_1540:                             ; =>This Inner Loop Header: Depth=1
	s_sethalt 5
	s_branch .LBB4_1540
.LBB4_1541:
	s_trap 2
	s_sendmsg_rtn_b32 s0, sendmsg(MSG_RTN_GET_DOORBELL)
	s_mov_b32 ttmp2, m0
	s_waitcnt lgkmcnt(0)
	s_and_b32 s0, s0, 0x3ff
	s_delay_alu instid0(SALU_CYCLE_1) | instskip(NEXT) | instid1(SALU_CYCLE_1)
	s_bitset1_b32 s0, 10
	s_mov_b32 m0, s0
	s_sendmsg sendmsg(MSG_INTERRUPT)
	s_mov_b32 m0, ttmp2
.LBB4_1542:                             ; =>This Inner Loop Header: Depth=1
	s_sethalt 5
	s_branch .LBB4_1542
.LBB4_1543:
	s_trap 2
	s_sendmsg_rtn_b32 s0, sendmsg(MSG_RTN_GET_DOORBELL)
	s_mov_b32 ttmp2, m0
	s_waitcnt lgkmcnt(0)
	s_and_b32 s0, s0, 0x3ff
	s_delay_alu instid0(SALU_CYCLE_1) | instskip(NEXT) | instid1(SALU_CYCLE_1)
	s_bitset1_b32 s0, 10
	s_mov_b32 m0, s0
	s_sendmsg sendmsg(MSG_INTERRUPT)
	s_mov_b32 m0, ttmp2
.LBB4_1544:                             ; =>This Inner Loop Header: Depth=1
	s_sethalt 5
	s_branch .LBB4_1544
.LBB4_1545:
	s_trap 2
	s_sendmsg_rtn_b32 s0, sendmsg(MSG_RTN_GET_DOORBELL)
	s_mov_b32 ttmp2, m0
	s_waitcnt lgkmcnt(0)
	s_and_b32 s0, s0, 0x3ff
	s_delay_alu instid0(SALU_CYCLE_1) | instskip(NEXT) | instid1(SALU_CYCLE_1)
	s_bitset1_b32 s0, 10
	s_mov_b32 m0, s0
	s_sendmsg sendmsg(MSG_INTERRUPT)
	s_mov_b32 m0, ttmp2
.LBB4_1546:                             ; =>This Inner Loop Header: Depth=1
	s_sethalt 5
	s_branch .LBB4_1546
.LBB4_1547:
	s_trap 2
	s_sendmsg_rtn_b32 s0, sendmsg(MSG_RTN_GET_DOORBELL)
	s_mov_b32 ttmp2, m0
	s_waitcnt lgkmcnt(0)
	s_and_b32 s0, s0, 0x3ff
	s_delay_alu instid0(SALU_CYCLE_1) | instskip(NEXT) | instid1(SALU_CYCLE_1)
	s_bitset1_b32 s0, 10
	s_mov_b32 m0, s0
	s_sendmsg sendmsg(MSG_INTERRUPT)
	s_mov_b32 m0, ttmp2
.LBB4_1548:                             ; =>This Inner Loop Header: Depth=1
	s_sethalt 5
	s_branch .LBB4_1548
.LBB4_1549:
	s_trap 2
	s_sendmsg_rtn_b32 s0, sendmsg(MSG_RTN_GET_DOORBELL)
	s_mov_b32 ttmp2, m0
	s_waitcnt lgkmcnt(0)
	s_and_b32 s0, s0, 0x3ff
	s_delay_alu instid0(SALU_CYCLE_1) | instskip(NEXT) | instid1(SALU_CYCLE_1)
	s_bitset1_b32 s0, 10
	s_mov_b32 m0, s0
	s_sendmsg sendmsg(MSG_INTERRUPT)
	s_mov_b32 m0, ttmp2
.LBB4_1550:                             ; =>This Inner Loop Header: Depth=1
	s_sethalt 5
	s_branch .LBB4_1550
.LBB4_1551:
	s_trap 2
	s_sendmsg_rtn_b32 s0, sendmsg(MSG_RTN_GET_DOORBELL)
	s_mov_b32 ttmp2, m0
	s_waitcnt lgkmcnt(0)
	s_and_b32 s0, s0, 0x3ff
	s_delay_alu instid0(SALU_CYCLE_1) | instskip(NEXT) | instid1(SALU_CYCLE_1)
	s_bitset1_b32 s0, 10
	s_mov_b32 m0, s0
	s_sendmsg sendmsg(MSG_INTERRUPT)
	s_mov_b32 m0, ttmp2
.LBB4_1552:                             ; =>This Inner Loop Header: Depth=1
	s_sethalt 5
	s_branch .LBB4_1552
.LBB4_1553:
	s_trap 2
	s_sendmsg_rtn_b32 s0, sendmsg(MSG_RTN_GET_DOORBELL)
	s_mov_b32 ttmp2, m0
	s_waitcnt lgkmcnt(0)
	s_and_b32 s0, s0, 0x3ff
	s_delay_alu instid0(SALU_CYCLE_1) | instskip(NEXT) | instid1(SALU_CYCLE_1)
	s_bitset1_b32 s0, 10
	s_mov_b32 m0, s0
	s_sendmsg sendmsg(MSG_INTERRUPT)
	s_mov_b32 m0, ttmp2
.LBB4_1554:                             ; =>This Inner Loop Header: Depth=1
	s_sethalt 5
	s_branch .LBB4_1554
.LBB4_1555:
	s_trap 2
	s_sendmsg_rtn_b32 s0, sendmsg(MSG_RTN_GET_DOORBELL)
	s_mov_b32 ttmp2, m0
	s_waitcnt lgkmcnt(0)
	s_and_b32 s0, s0, 0x3ff
	s_delay_alu instid0(SALU_CYCLE_1) | instskip(NEXT) | instid1(SALU_CYCLE_1)
	s_bitset1_b32 s0, 10
	s_mov_b32 m0, s0
	s_sendmsg sendmsg(MSG_INTERRUPT)
	s_mov_b32 m0, ttmp2
.LBB4_1556:                             ; =>This Inner Loop Header: Depth=1
	s_sethalt 5
	s_branch .LBB4_1556
.LBB4_1557:
	s_trap 2
	s_sendmsg_rtn_b32 s0, sendmsg(MSG_RTN_GET_DOORBELL)
	s_mov_b32 ttmp2, m0
	s_waitcnt lgkmcnt(0)
	s_and_b32 s0, s0, 0x3ff
	s_delay_alu instid0(SALU_CYCLE_1) | instskip(NEXT) | instid1(SALU_CYCLE_1)
	s_bitset1_b32 s0, 10
	s_mov_b32 m0, s0
	s_sendmsg sendmsg(MSG_INTERRUPT)
	s_mov_b32 m0, ttmp2
.LBB4_1558:                             ; =>This Inner Loop Header: Depth=1
	s_sethalt 5
	s_branch .LBB4_1558
.LBB4_1559:
	s_trap 2
	s_sendmsg_rtn_b32 s0, sendmsg(MSG_RTN_GET_DOORBELL)
	s_mov_b32 ttmp2, m0
	s_waitcnt lgkmcnt(0)
	s_and_b32 s0, s0, 0x3ff
	s_delay_alu instid0(SALU_CYCLE_1) | instskip(NEXT) | instid1(SALU_CYCLE_1)
	s_bitset1_b32 s0, 10
	s_mov_b32 m0, s0
	s_sendmsg sendmsg(MSG_INTERRUPT)
	s_mov_b32 m0, ttmp2
.LBB4_1560:                             ; =>This Inner Loop Header: Depth=1
	s_sethalt 5
	s_branch .LBB4_1560
.LBB4_1561:
	s_trap 2
	s_sendmsg_rtn_b32 s0, sendmsg(MSG_RTN_GET_DOORBELL)
	s_mov_b32 ttmp2, m0
	s_waitcnt lgkmcnt(0)
	s_and_b32 s0, s0, 0x3ff
	s_delay_alu instid0(SALU_CYCLE_1) | instskip(NEXT) | instid1(SALU_CYCLE_1)
	s_bitset1_b32 s0, 10
	s_mov_b32 m0, s0
	s_sendmsg sendmsg(MSG_INTERRUPT)
	s_mov_b32 m0, ttmp2
.LBB4_1562:                             ; =>This Inner Loop Header: Depth=1
	s_sethalt 5
	s_branch .LBB4_1562
.LBB4_1563:
	s_trap 2
	s_sendmsg_rtn_b32 s0, sendmsg(MSG_RTN_GET_DOORBELL)
	s_mov_b32 ttmp2, m0
	s_waitcnt lgkmcnt(0)
	s_and_b32 s0, s0, 0x3ff
	s_delay_alu instid0(SALU_CYCLE_1) | instskip(NEXT) | instid1(SALU_CYCLE_1)
	s_bitset1_b32 s0, 10
	s_mov_b32 m0, s0
	s_sendmsg sendmsg(MSG_INTERRUPT)
	s_mov_b32 m0, ttmp2
.LBB4_1564:                             ; =>This Inner Loop Header: Depth=1
	s_sethalt 5
	s_branch .LBB4_1564
.LBB4_1565:
	s_trap 2
	s_sendmsg_rtn_b32 s0, sendmsg(MSG_RTN_GET_DOORBELL)
	s_mov_b32 ttmp2, m0
	s_waitcnt lgkmcnt(0)
	s_and_b32 s0, s0, 0x3ff
	s_delay_alu instid0(SALU_CYCLE_1) | instskip(NEXT) | instid1(SALU_CYCLE_1)
	s_bitset1_b32 s0, 10
	s_mov_b32 m0, s0
	s_sendmsg sendmsg(MSG_INTERRUPT)
	s_mov_b32 m0, ttmp2
.LBB4_1566:                             ; =>This Inner Loop Header: Depth=1
	s_sethalt 5
	s_branch .LBB4_1566
.LBB4_1567:
	s_trap 2
	s_sendmsg_rtn_b32 s0, sendmsg(MSG_RTN_GET_DOORBELL)
	s_mov_b32 ttmp2, m0
	s_waitcnt lgkmcnt(0)
	s_and_b32 s0, s0, 0x3ff
	s_delay_alu instid0(SALU_CYCLE_1) | instskip(NEXT) | instid1(SALU_CYCLE_1)
	s_bitset1_b32 s0, 10
	s_mov_b32 m0, s0
	s_sendmsg sendmsg(MSG_INTERRUPT)
	s_mov_b32 m0, ttmp2
.LBB4_1568:                             ; =>This Inner Loop Header: Depth=1
	s_sethalt 5
	s_branch .LBB4_1568
.LBB4_1569:
	s_trap 2
	s_sendmsg_rtn_b32 s0, sendmsg(MSG_RTN_GET_DOORBELL)
	s_mov_b32 ttmp2, m0
	s_waitcnt lgkmcnt(0)
	s_and_b32 s0, s0, 0x3ff
	s_delay_alu instid0(SALU_CYCLE_1) | instskip(NEXT) | instid1(SALU_CYCLE_1)
	s_bitset1_b32 s0, 10
	s_mov_b32 m0, s0
	s_sendmsg sendmsg(MSG_INTERRUPT)
	s_mov_b32 m0, ttmp2
.LBB4_1570:                             ; =>This Inner Loop Header: Depth=1
	s_sethalt 5
	s_branch .LBB4_1570
.LBB4_1571:
	s_trap 2
	s_sendmsg_rtn_b32 s0, sendmsg(MSG_RTN_GET_DOORBELL)
	s_mov_b32 ttmp2, m0
	s_waitcnt lgkmcnt(0)
	s_and_b32 s0, s0, 0x3ff
	s_delay_alu instid0(SALU_CYCLE_1) | instskip(NEXT) | instid1(SALU_CYCLE_1)
	s_bitset1_b32 s0, 10
	s_mov_b32 m0, s0
	s_sendmsg sendmsg(MSG_INTERRUPT)
	s_mov_b32 m0, ttmp2
.LBB4_1572:                             ; =>This Inner Loop Header: Depth=1
	s_sethalt 5
	s_branch .LBB4_1572
.LBB4_1573:
	s_trap 2
	s_sendmsg_rtn_b32 s0, sendmsg(MSG_RTN_GET_DOORBELL)
	s_mov_b32 ttmp2, m0
	s_waitcnt lgkmcnt(0)
	s_and_b32 s0, s0, 0x3ff
	s_delay_alu instid0(SALU_CYCLE_1) | instskip(NEXT) | instid1(SALU_CYCLE_1)
	s_bitset1_b32 s0, 10
	s_mov_b32 m0, s0
	s_sendmsg sendmsg(MSG_INTERRUPT)
	s_mov_b32 m0, ttmp2
.LBB4_1574:                             ; =>This Inner Loop Header: Depth=1
	s_sethalt 5
	s_branch .LBB4_1574
.LBB4_1575:
	s_trap 2
	s_sendmsg_rtn_b32 s0, sendmsg(MSG_RTN_GET_DOORBELL)
	s_mov_b32 ttmp2, m0
	s_waitcnt lgkmcnt(0)
	s_and_b32 s0, s0, 0x3ff
	s_delay_alu instid0(SALU_CYCLE_1) | instskip(NEXT) | instid1(SALU_CYCLE_1)
	s_bitset1_b32 s0, 10
	s_mov_b32 m0, s0
	s_sendmsg sendmsg(MSG_INTERRUPT)
	s_mov_b32 m0, ttmp2
.LBB4_1576:                             ; =>This Inner Loop Header: Depth=1
	s_sethalt 5
	s_branch .LBB4_1576
.LBB4_1577:
	s_trap 2
	s_sendmsg_rtn_b32 s0, sendmsg(MSG_RTN_GET_DOORBELL)
	s_mov_b32 ttmp2, m0
	s_waitcnt lgkmcnt(0)
	s_and_b32 s0, s0, 0x3ff
	s_delay_alu instid0(SALU_CYCLE_1) | instskip(NEXT) | instid1(SALU_CYCLE_1)
	s_bitset1_b32 s0, 10
	s_mov_b32 m0, s0
	s_sendmsg sendmsg(MSG_INTERRUPT)
	s_mov_b32 m0, ttmp2
.LBB4_1578:                             ; =>This Inner Loop Header: Depth=1
	s_sethalt 5
	s_branch .LBB4_1578
.LBB4_1579:
	s_trap 2
	s_sendmsg_rtn_b32 s0, sendmsg(MSG_RTN_GET_DOORBELL)
	s_mov_b32 ttmp2, m0
	s_waitcnt lgkmcnt(0)
	s_and_b32 s0, s0, 0x3ff
	s_delay_alu instid0(SALU_CYCLE_1) | instskip(NEXT) | instid1(SALU_CYCLE_1)
	s_bitset1_b32 s0, 10
	s_mov_b32 m0, s0
	s_sendmsg sendmsg(MSG_INTERRUPT)
	s_mov_b32 m0, ttmp2
.LBB4_1580:                             ; =>This Inner Loop Header: Depth=1
	s_sethalt 5
	s_branch .LBB4_1580
.LBB4_1581:
	s_trap 2
	s_sendmsg_rtn_b32 s0, sendmsg(MSG_RTN_GET_DOORBELL)
	s_mov_b32 ttmp2, m0
	s_waitcnt lgkmcnt(0)
	s_and_b32 s0, s0, 0x3ff
	s_delay_alu instid0(SALU_CYCLE_1) | instskip(NEXT) | instid1(SALU_CYCLE_1)
	s_bitset1_b32 s0, 10
	s_mov_b32 m0, s0
	s_sendmsg sendmsg(MSG_INTERRUPT)
	s_mov_b32 m0, ttmp2
.LBB4_1582:                             ; =>This Inner Loop Header: Depth=1
	s_sethalt 5
	s_branch .LBB4_1582
.LBB4_1583:
	s_trap 2
	s_sendmsg_rtn_b32 s0, sendmsg(MSG_RTN_GET_DOORBELL)
	s_mov_b32 ttmp2, m0
	s_waitcnt lgkmcnt(0)
	s_and_b32 s0, s0, 0x3ff
	s_delay_alu instid0(SALU_CYCLE_1) | instskip(NEXT) | instid1(SALU_CYCLE_1)
	s_bitset1_b32 s0, 10
	s_mov_b32 m0, s0
	s_sendmsg sendmsg(MSG_INTERRUPT)
	s_mov_b32 m0, ttmp2
.LBB4_1584:                             ; =>This Inner Loop Header: Depth=1
	s_sethalt 5
	s_branch .LBB4_1584
.LBB4_1585:
	s_trap 2
	s_sendmsg_rtn_b32 s0, sendmsg(MSG_RTN_GET_DOORBELL)
	s_mov_b32 ttmp2, m0
	s_waitcnt lgkmcnt(0)
	s_and_b32 s0, s0, 0x3ff
	s_delay_alu instid0(SALU_CYCLE_1) | instskip(NEXT) | instid1(SALU_CYCLE_1)
	s_bitset1_b32 s0, 10
	s_mov_b32 m0, s0
	s_sendmsg sendmsg(MSG_INTERRUPT)
	s_mov_b32 m0, ttmp2
.LBB4_1586:                             ; =>This Inner Loop Header: Depth=1
	s_sethalt 5
	s_branch .LBB4_1586
.LBB4_1587:
	s_trap 2
	s_sendmsg_rtn_b32 s0, sendmsg(MSG_RTN_GET_DOORBELL)
	s_mov_b32 ttmp2, m0
	s_waitcnt lgkmcnt(0)
	s_and_b32 s0, s0, 0x3ff
	s_delay_alu instid0(SALU_CYCLE_1) | instskip(NEXT) | instid1(SALU_CYCLE_1)
	s_bitset1_b32 s0, 10
	s_mov_b32 m0, s0
	s_sendmsg sendmsg(MSG_INTERRUPT)
	s_mov_b32 m0, ttmp2
.LBB4_1588:                             ; =>This Inner Loop Header: Depth=1
	s_sethalt 5
	s_branch .LBB4_1588
.LBB4_1589:
	s_trap 2
	s_sendmsg_rtn_b32 s0, sendmsg(MSG_RTN_GET_DOORBELL)
	s_mov_b32 ttmp2, m0
	s_waitcnt lgkmcnt(0)
	s_and_b32 s0, s0, 0x3ff
	s_delay_alu instid0(SALU_CYCLE_1) | instskip(NEXT) | instid1(SALU_CYCLE_1)
	s_bitset1_b32 s0, 10
	s_mov_b32 m0, s0
	s_sendmsg sendmsg(MSG_INTERRUPT)
	s_mov_b32 m0, ttmp2
.LBB4_1590:                             ; =>This Inner Loop Header: Depth=1
	s_sethalt 5
	s_branch .LBB4_1590
.LBB4_1591:
	s_trap 2
	s_sendmsg_rtn_b32 s0, sendmsg(MSG_RTN_GET_DOORBELL)
	s_mov_b32 ttmp2, m0
	s_waitcnt lgkmcnt(0)
	s_and_b32 s0, s0, 0x3ff
	s_delay_alu instid0(SALU_CYCLE_1) | instskip(NEXT) | instid1(SALU_CYCLE_1)
	s_bitset1_b32 s0, 10
	s_mov_b32 m0, s0
	s_sendmsg sendmsg(MSG_INTERRUPT)
	s_mov_b32 m0, ttmp2
.LBB4_1592:                             ; =>This Inner Loop Header: Depth=1
	s_sethalt 5
	s_branch .LBB4_1592
.LBB4_1593:
	s_trap 2
	s_sendmsg_rtn_b32 s0, sendmsg(MSG_RTN_GET_DOORBELL)
	s_mov_b32 ttmp2, m0
	s_waitcnt lgkmcnt(0)
	s_and_b32 s0, s0, 0x3ff
	s_delay_alu instid0(SALU_CYCLE_1) | instskip(NEXT) | instid1(SALU_CYCLE_1)
	s_bitset1_b32 s0, 10
	s_mov_b32 m0, s0
	s_sendmsg sendmsg(MSG_INTERRUPT)
	s_mov_b32 m0, ttmp2
.LBB4_1594:                             ; =>This Inner Loop Header: Depth=1
	s_sethalt 5
	s_branch .LBB4_1594
.Lfunc_end4:
	.size	_ZN12_GLOBAL__N_17runRingIa7FuncSumIaE11ProtoSimpleILi1ELi1ELi0ELi1ELi0ELi0EELi0ELi1ELi0EEEviiP15ncclDevWorkColl, .Lfunc_end4-_ZN12_GLOBAL__N_17runRingIa7FuncSumIaE11ProtoSimpleILi1ELi1ELi0ELi1ELi0ELi0EELi0ELi1ELi0EEEviiP15ncclDevWorkColl
                                        ; -- End function
	.section	.AMDGPU.csdata,"",@progbits
; Function info:
; codeLenInByte = 44804
; NumSgprs: 43
; NumVgprs: 135
; ScratchSize: 80
; MemoryBound: 1
	.text
	.p2align	2                               ; -- Begin function _Z46ncclDevFunc_Broadcast_RING_SIMPLE_Sum_i8_0_0_1v
	.type	_Z46ncclDevFunc_Broadcast_RING_SIMPLE_Sum_i8_0_0_1v,@function
_Z46ncclDevFunc_Broadcast_RING_SIMPLE_Sum_i8_0_0_1v: ; @_Z46ncclDevFunc_Broadcast_RING_SIMPLE_Sum_i8_0_0_1v
; %bb.0:
	s_waitcnt vmcnt(0) expcnt(0) lgkmcnt(0)
	s_mov_b32 s0, s33
	s_mov_b32 s33, s32
	s_or_saveexec_b32 s1, -1
	scratch_store_b32 off, v40, s33 offset:8 ; 4-byte Folded Spill
	s_mov_b32 exec_lo, s1
	v_writelane_b32 v40, s0, 15
	s_add_i32 s32, s32, 16
	s_clause 0x1
	scratch_store_b32 off, v41, s33 offset:4
	; meta instruction
	scratch_store_b32 off, v42, s33
	v_writelane_b32 v40, s34, 0
	v_writelane_b32 v40, s35, 1
	;; [unrolled: 1-line block ×15, first 2 shown]
	s_cbranch_execnz .LBB5_13
; %bb.1:
	ds_load_b32 v0, v0
	s_waitcnt lgkmcnt(0)
	v_cmp_gt_i32_e32 vcc_lo, 1, v0
	s_cbranch_vccnz .LBB5_12
; %bb.2:
	v_and_b32_e32 v135, 0x3ff, v31
	s_mov_b32 s46, 0
	s_mov_b64 s[44:45], src_shared_base
.LBB5_3:                                ; =>This Inner Loop Header: Depth=1
	s_cbranch_execnz .LBB5_15
; %bb.4:                                ;   in Loop: Header=BB5_3 Depth=1
	ds_load_b32 v0, v0
	s_cmp_eq_u32 s46, 0
	s_cbranch_scc1 .LBB5_8
; %bb.5:                                ;   in Loop: Header=BB5_3 Depth=1
	s_cbranch_execnz .LBB5_19
; %bb.6:                                ;   in Loop: Header=BB5_3 Depth=1
	s_waitcnt lgkmcnt(0)
	ds_load_b32 v1, v0
	s_waitcnt lgkmcnt(0)
	v_xor_b32_e32 v1, v1, v0
	s_delay_alu instid0(VALU_DEP_1) | instskip(NEXT) | instid1(VALU_DEP_1)
	v_and_b32_e32 v1, 0xff0000, v1
	v_cmp_eq_u32_e32 vcc_lo, 0, v1
	s_cbranch_vccnz .LBB5_8
; %bb.7:                                ;   in Loop: Header=BB5_3 Depth=1
	s_waitcnt_vscnt null, 0x0
	s_barrier
	buffer_gl0_inv
	ds_load_b32 v0, v0
.LBB5_8:                                ;   in Loop: Header=BB5_3 Depth=1
	s_waitcnt lgkmcnt(0)
	v_lshrrev_b32_e32 v0, 11, v0
	s_mov_b32 s44, exec_lo
	s_delay_alu instid0(VALU_DEP_1) | instskip(NEXT) | instid1(VALU_DEP_1)
	v_and_b32_e32 v1, 0x1fe0, v0
	v_cmpx_lt_u32_e64 v135, v1
	s_cbranch_execz .LBB5_10
; %bb.9:                                ;   in Loop: Header=BB5_3 Depth=1
	v_dual_mov_b32 v144, v31 :: v_dual_mov_b32 v3, s45
	v_mov_b32_e32 v0, v135
	s_getpc_b64 s[0:1]
	s_add_u32 s0, s0, _ZN12_GLOBAL__N_17runRingIa7FuncSumIaE11ProtoSimpleILi1ELi1ELi0ELi1ELi0ELi0EELi0ELi1ELi0EEEviiP15ncclDevWorkColl@rel32@lo+4
	s_addc_u32 s1, s1, _ZN12_GLOBAL__N_17runRingIa7FuncSumIaE11ProtoSimpleILi1ELi1ELi0ELi1ELi0ELi0EELi0ELi1ELi0EEEviiP15ncclDevWorkColl@rel32@hi+12
	s_mov_b64 s[42:43], s[8:9]
	s_mov_b32 s41, s12
	s_swappc_b64 s[30:31], s[0:1]
	v_mov_b32_e32 v31, v144
	s_mov_b32 s12, s41
	s_mov_b64 s[8:9], s[42:43]
.LBB5_10:                               ;   in Loop: Header=BB5_3 Depth=1
	s_or_b32 exec_lo, exec_lo, s44
	s_cbranch_execnz .LBB5_17
; %bb.11:                               ;   in Loop: Header=BB5_3 Depth=1
	ds_load_b32 v0, v0
	s_add_i32 s46, s46, 1
	s_waitcnt lgkmcnt(0)
	v_cmp_lt_i32_e32 vcc_lo, s46, v0
	s_cbranch_vccnz .LBB5_3
.LBB5_12:
	s_clause 0x1
	scratch_load_b32 v42, off, s33
	scratch_load_b32 v41, off, s33 offset:4
	v_readlane_b32 s30, v40, 13
	v_readlane_b32 s31, v40, 14
	;; [unrolled: 1-line block ×16, first 2 shown]
	s_or_saveexec_b32 s1, -1
	scratch_load_b32 v40, off, s33 offset:8 ; 4-byte Folded Reload
	s_mov_b32 exec_lo, s1
	s_add_i32 s32, s32, -16
	s_mov_b32 s33, s0
	s_waitcnt vmcnt(0)
	s_setpc_b64 s[30:31]
.LBB5_13:
	s_trap 2
	s_sendmsg_rtn_b32 s0, sendmsg(MSG_RTN_GET_DOORBELL)
	s_mov_b32 ttmp2, m0
	s_waitcnt lgkmcnt(0)
	s_and_b32 s0, s0, 0x3ff
	s_delay_alu instid0(SALU_CYCLE_1) | instskip(NEXT) | instid1(SALU_CYCLE_1)
	s_bitset1_b32 s0, 10
	s_mov_b32 m0, s0
	s_sendmsg sendmsg(MSG_INTERRUPT)
	s_mov_b32 m0, ttmp2
.LBB5_14:                               ; =>This Inner Loop Header: Depth=1
	s_sethalt 5
	s_branch .LBB5_14
.LBB5_15:
	s_trap 2
	s_sendmsg_rtn_b32 s0, sendmsg(MSG_RTN_GET_DOORBELL)
	s_mov_b32 ttmp2, m0
	s_waitcnt lgkmcnt(0)
	s_and_b32 s0, s0, 0x3ff
	s_delay_alu instid0(SALU_CYCLE_1) | instskip(NEXT) | instid1(SALU_CYCLE_1)
	s_bitset1_b32 s0, 10
	s_mov_b32 m0, s0
	s_sendmsg sendmsg(MSG_INTERRUPT)
	s_mov_b32 m0, ttmp2
.LBB5_16:                               ; =>This Inner Loop Header: Depth=1
	s_sethalt 5
	s_branch .LBB5_16
.LBB5_17:
	s_trap 2
	s_sendmsg_rtn_b32 s0, sendmsg(MSG_RTN_GET_DOORBELL)
	s_mov_b32 ttmp2, m0
	s_waitcnt lgkmcnt(0)
	s_and_b32 s0, s0, 0x3ff
	s_delay_alu instid0(SALU_CYCLE_1) | instskip(NEXT) | instid1(SALU_CYCLE_1)
	s_bitset1_b32 s0, 10
	s_mov_b32 m0, s0
	s_sendmsg sendmsg(MSG_INTERRUPT)
	s_mov_b32 m0, ttmp2
.LBB5_18:                               ; =>This Inner Loop Header: Depth=1
	s_sethalt 5
	s_branch .LBB5_18
.LBB5_19:
	s_trap 2
	s_sendmsg_rtn_b32 s0, sendmsg(MSG_RTN_GET_DOORBELL)
	s_mov_b32 ttmp2, m0
	s_waitcnt lgkmcnt(0)
	s_and_b32 s0, s0, 0x3ff
	s_delay_alu instid0(SALU_CYCLE_1) | instskip(NEXT) | instid1(SALU_CYCLE_1)
	s_bitset1_b32 s0, 10
	s_mov_b32 m0, s0
	s_sendmsg sendmsg(MSG_INTERRUPT)
	s_mov_b32 m0, ttmp2
.LBB5_20:                               ; =>This Inner Loop Header: Depth=1
	s_sethalt 5
	s_branch .LBB5_20
.Lfunc_end5:
	.size	_Z46ncclDevFunc_Broadcast_RING_SIMPLE_Sum_i8_0_0_1v, .Lfunc_end5-_Z46ncclDevFunc_Broadcast_RING_SIMPLE_Sum_i8_0_0_1v
                                        ; -- End function
	.section	.AMDGPU.csdata,"",@progbits
; Function info:
; codeLenInByte = 820
; NumSgprs: 49
; NumVgprs: 145
; ScratchSize: 96
; MemoryBound: 0
	.text
	.p2align	2                               ; -- Begin function _ZN12_GLOBAL__N_17runRingIa7FuncSumIaE7ProtoLLLi0ELi2ELi0EEEviiP15ncclDevWorkColl
	.type	_ZN12_GLOBAL__N_17runRingIa7FuncSumIaE7ProtoLLLi0ELi2ELi0EEEviiP15ncclDevWorkColl,@function
_ZN12_GLOBAL__N_17runRingIa7FuncSumIaE7ProtoLLLi0ELi2ELi0EEEviiP15ncclDevWorkColl: ; @_ZN12_GLOBAL__N_17runRingIa7FuncSumIaE7ProtoLLLi0ELi2ELi0EEEviiP15ncclDevWorkColl
; %bb.0:
	s_waitcnt vmcnt(0) expcnt(0) lgkmcnt(0)
	s_cbranch_execnz .LBB6_15
; %bb.1:
	ds_load_b64 v[4:5], v0
	s_clause 0x1
	flat_load_b64 v[20:21], v[2:3]
	flat_load_u16 v9, v[2:3] offset:8
	ds_load_b32 v6, v0
	s_mov_b32 s0, exec_lo
                                        ; implicit-def: $vgpr16_vgpr17
                                        ; implicit-def: $vgpr18_vgpr19
	s_waitcnt lgkmcnt(3)
	flat_load_b64 v[14:15], v[4:5]
                                        ; implicit-def: $vgpr4_vgpr5
	s_waitcnt vmcnt(2) lgkmcnt(3)
	v_dual_mov_b32 v8, v21 :: v_dual_and_b32 v7, 0xff, v20
	s_waitcnt lgkmcnt(1)
	s_delay_alu instid0(VALU_DEP_1)
	v_cmpx_ne_u32_e64 v7, v6
	s_xor_b32 s0, exec_lo, s0
	s_cbranch_execz .LBB6_7
; %bb.2:
	v_bfe_u32 v11, v20, 8, 8
	v_not_b32_e32 v10, v7
	s_mov_b32 s1, exec_lo
                                        ; implicit-def: $vgpr16_vgpr17
                                        ; implicit-def: $vgpr4_vgpr5
                                        ; implicit-def: $vgpr18_vgpr19
	s_delay_alu instid0(VALU_DEP_2)
	v_cmpx_ne_u32_e64 v11, v6
	s_xor_b32 s1, exec_lo, s1
	s_cbranch_execz .LBB6_4
; %bb.3:
	s_clause 0x1
	flat_load_b128 v[21:24], v[2:3] offset:72
	flat_load_b64 v[4:5], v[2:3] offset:96
	v_add_nc_u32_e32 v6, v6, v10
                                        ; implicit-def: $vgpr11
                                        ; implicit-def: $vgpr10
	s_waitcnt vmcnt(0) lgkmcnt(0)
	v_lshrrev_b64 v[16:17], 21, v[4:5]
	v_dual_mov_b32 v4, v23 :: v_dual_mov_b32 v5, v24
	s_delay_alu instid0(VALU_DEP_3) | instskip(SKIP_2) | instid1(VALU_DEP_3)
	v_ashrrev_i32_e32 v7, 31, v6
	v_mad_u64_u32 v[18:19], null, v23, v6, v[21:22]
	v_mul_lo_u32 v6, v24, v6
	v_mul_lo_u32 v7, v23, v7
	s_delay_alu instid0(VALU_DEP_1)
	v_add3_u32 v19, v6, v19, v7
.LBB6_4:
	s_and_not1_saveexec_b32 s1, s1
	s_cbranch_execz .LBB6_6
; %bb.5:
	s_clause 0x1
	flat_load_b128 v[21:24], v[2:3] offset:72
	flat_load_b128 v[4:7], v[2:3] offset:88
	s_waitcnt vmcnt(0) lgkmcnt(0)
	v_add_nc_u32_e32 v6, v11, v10
	s_delay_alu instid0(VALU_DEP_1) | instskip(NEXT) | instid1(VALU_DEP_1)
	v_ashrrev_i32_e32 v10, 31, v6
	v_mul_lo_u32 v10, v23, v10
	v_mad_u64_u32 v[18:19], null, v23, v6, v[21:22]
	v_mul_lo_u32 v6, v24, v6
	v_lshrrev_b32_e32 v16, 10, v7
	s_delay_alu instid0(VALU_DEP_2)
	v_add3_u32 v19, v6, v19, v10
.LBB6_6:
	s_or_b32 exec_lo, exec_lo, s1
.LBB6_7:
	s_and_not1_saveexec_b32 s0, s0
; %bb.8:
	s_clause 0x1
	flat_load_b64 v[4:5], v[2:3] offset:72
	flat_load_b64 v[16:17], v[2:3] offset:96
	v_mov_b32_e32 v18, 0
	v_mov_b32_e32 v19, 0
; %bb.9:
	s_or_b32 exec_lo, exec_lo, s0
	flat_load_b128 v[10:13], v[2:3] offset:16
	v_and_b32_e32 v2, 0x44000000, v20
	s_waitcnt vmcnt(1) lgkmcnt(1)
	v_bfe_u32 v17, v8, 1, 30
	s_mov_b32 s0, exec_lo
	s_delay_alu instid0(VALU_DEP_2) | instskip(NEXT) | instid1(VALU_DEP_1)
	v_cmp_eq_u32_e64 s10, 0x44000000, v2
	v_cndmask_b32_e64 v2, v1, 32, s10
	s_delay_alu instid0(VALU_DEP_1)
	v_cmpx_ge_i32_e64 v0, v2
	s_xor_b32 s1, exec_lo, s0
	s_cbranch_execz .LBB6_43
; %bb.10:
	s_waitcnt vmcnt(0) lgkmcnt(0)
	v_cmp_ne_u64_e32 vcc_lo, v[12:13], v[10:11]
	v_cmp_eq_u32_e64 s0, v14, v17
	s_delay_alu instid0(VALU_DEP_1) | instskip(NEXT) | instid1(SALU_CYCLE_1)
	s_and_b32 s0, vcc_lo, s0
	s_and_saveexec_b32 s2, s0
	s_cbranch_execz .LBB6_42
; %bb.11:
	v_sub_nc_u32_e32 v8, v0, v2
	v_add_co_u32 v3, vcc_lo, v12, v18
	v_add_co_ci_u32_e32 v6, vcc_lo, v13, v19, vcc_lo
	s_delay_alu instid0(VALU_DEP_3) | instskip(SKIP_2) | instid1(VALU_DEP_3)
	v_ashrrev_i32_e32 v0, 31, v8
	v_add_co_u32 v14, vcc_lo, v10, v18
	v_add_co_ci_u32_e32 v15, vcc_lo, v11, v19, vcc_lo
	v_lshrrev_b32_e32 v0, 27, v0
	s_mov_b32 s0, exec_lo
	s_delay_alu instid0(VALU_DEP_1) | instskip(NEXT) | instid1(VALU_DEP_1)
	v_add_nc_u32_e32 v0, v8, v0
	v_and_b32_e32 v7, 0xffffffe0, v0
	s_delay_alu instid0(VALU_DEP_1) | instskip(SKIP_1) | instid1(VALU_DEP_2)
	v_sub_nc_u32_e32 v17, v8, v7
	v_mov_b32_e32 v7, 0
	v_cmpx_gt_i32_e32 1, v17
; %bb.12:
	v_or_b32_e32 v7, v3, v14
	s_delay_alu instid0(VALU_DEP_1) | instskip(NEXT) | instid1(VALU_DEP_1)
	v_and_b32_e32 v7, 15, v7
	v_cmp_ne_u32_e32 vcc_lo, 0, v7
	v_cndmask_b32_e64 v7, 0, 1, vcc_lo
; %bb.13:
	s_or_b32 exec_lo, exec_lo, s0
	;;#ASMSTART
	;;#ASMEND
	s_delay_alu instid0(VALU_DEP_1)
	v_cmp_ne_u32_e32 vcc_lo, 0, v7
	v_ashrrev_i32_e32 v9, 5, v0
	v_sub_nc_u32_e32 v16, v1, v2
	s_cbranch_vccz .LBB6_17
; %bb.14:
	v_mov_b32_e32 v0, 0
	v_mov_b32_e32 v1, 0
	s_mov_b32 s0, -1
	s_delay_alu instid0(SALU_CYCLE_1)
	s_and_b32 exec_lo, exec_lo, s0
	s_cbranch_execnz .LBB6_34
	s_branch .LBB6_42
.LBB6_15:
	s_trap 2
	s_sendmsg_rtn_b32 s0, sendmsg(MSG_RTN_GET_DOORBELL)
	s_mov_b32 ttmp2, m0
	s_waitcnt lgkmcnt(0)
	s_and_b32 s0, s0, 0x3ff
	s_delay_alu instid0(SALU_CYCLE_1) | instskip(NEXT) | instid1(SALU_CYCLE_1)
	s_bitset1_b32 s0, 10
	s_mov_b32 m0, s0
	s_sendmsg sendmsg(MSG_INTERRUPT)
	s_mov_b32 m0, ttmp2
.LBB6_16:                               ; =>This Inner Loop Header: Depth=1
	s_sethalt 5
	s_branch .LBB6_16
.LBB6_17:
	v_ashrrev_i32_e32 v0, 31, v5
	s_delay_alu instid0(VALU_DEP_3) | instskip(SKIP_1) | instid1(VALU_DEP_2)
	v_ashrrev_i32_e32 v2, 31, v9
	s_mov_b32 s3, exec_lo
	v_lshrrev_b32_e32 v0, 21, v0
	s_delay_alu instid0(VALU_DEP_1) | instskip(SKIP_1) | instid1(VALU_DEP_1)
	v_add_co_u32 v0, vcc_lo, v4, v0
	v_add_co_ci_u32_e32 v1, vcc_lo, 0, v5, vcc_lo
	v_ashrrev_i64 v[0:1], 11, v[0:1]
	s_delay_alu instid0(VALU_DEP_1) | instskip(NEXT) | instid1(VALU_DEP_2)
	v_sub_co_u32 v7, vcc_lo, v0, v9
	v_sub_co_ci_u32_e32 v8, vcc_lo, v1, v2, vcc_lo
	s_delay_alu instid0(VALU_DEP_1)
	v_cmpx_lt_i64_e32 0, v[7:8]
	s_cbranch_execz .LBB6_21
; %bb.18:
	v_ashrrev_i32_e32 v2, 31, v16
	v_lshlrev_b32_e32 v20, 4, v17
	s_mov_b32 s4, 0
	s_delay_alu instid0(VALU_DEP_2) | instskip(NEXT) | instid1(VALU_DEP_2)
	v_lshrrev_b32_e32 v2, 27, v2
	v_lshl_add_u32 v9, v9, 11, v20
	s_delay_alu instid0(VALU_DEP_2) | instskip(NEXT) | instid1(VALU_DEP_2)
	v_add_nc_u32_e32 v2, v16, v2
	v_ashrrev_i32_e32 v20, 31, v9
	s_delay_alu instid0(VALU_DEP_2) | instskip(NEXT) | instid1(VALU_DEP_1)
	v_ashrrev_i32_e32 v2, 5, v2
	v_lshl_add_u32 v22, v2, 11, 0xfffff800
	v_ashrrev_i32_e32 v21, 31, v2
	s_delay_alu instid0(VALU_DEP_2) | instskip(SKIP_1) | instid1(VALU_DEP_2)
	v_ashrrev_i32_e32 v23, 31, v22
	v_add_co_u32 v22, vcc_lo, 0x800, v22
	v_add_co_ci_u32_e32 v23, vcc_lo, 0, v23, vcc_lo
	s_set_inst_prefetch_distance 0x1
	.p2align	6
.LBB6_19:                               ; =>This Inner Loop Header: Depth=1
	v_add_co_u32 v36, vcc_lo, v9, v3
	v_add_co_ci_u32_e32 v37, vcc_lo, v20, v6, vcc_lo
	v_add_co_u32 v48, vcc_lo, v9, v14
	v_add_co_ci_u32_e32 v49, vcc_lo, v20, v15, vcc_lo
	s_clause 0x3
	global_load_b128 v[24:27], v[36:37], off slc dlc
	global_load_b128 v[28:31], v[36:37], off offset:512 slc dlc
	global_load_b128 v[32:35], v[36:37], off offset:1024 slc dlc
	global_load_b128 v[36:39], v[36:37], off offset:1536 slc dlc
	v_sub_co_u32 v7, vcc_lo, v7, v2
	v_sub_co_ci_u32_e32 v8, vcc_lo, v8, v21, vcc_lo
	v_add_co_u32 v3, vcc_lo, v3, v22
	v_add_co_ci_u32_e32 v6, vcc_lo, v6, v23, vcc_lo
	s_delay_alu instid0(VALU_DEP_3) | instskip(SKIP_1) | instid1(VALU_DEP_1)
	v_cmp_gt_i64_e32 vcc_lo, 1, v[7:8]
	v_add_co_u32 v14, s0, v14, v22
	v_add_co_ci_u32_e64 v15, s0, v15, v23, s0
	s_waitcnt vmcnt(3)
	global_store_b128 v[48:49], v[24:27], off glc slc dlc
	s_waitcnt vmcnt(2)
	global_store_b128 v[48:49], v[28:31], off offset:512 glc slc dlc
	s_waitcnt vmcnt(1)
	global_store_b128 v[48:49], v[32:35], off offset:1024 glc slc dlc
	;; [unrolled: 2-line block ×3, first 2 shown]
	s_or_b32 s4, vcc_lo, s4
	s_delay_alu instid0(SALU_CYCLE_1)
	s_and_not1_b32 exec_lo, exec_lo, s4
	s_cbranch_execnz .LBB6_19
; %bb.20:
	s_set_inst_prefetch_distance 0x2
	s_or_b32 exec_lo, exec_lo, s4
.LBB6_21:
	s_delay_alu instid0(SALU_CYCLE_1)
	s_or_b32 exec_lo, exec_lo, s3
	v_lshlrev_b64 v[14:15], 11, v[0:1]
	v_mov_b32_e32 v0, 0
	v_mov_b32_e32 v1, 0
	s_mov_b32 s0, 0
	s_mov_b32 s3, exec_lo
                                        ; implicit-def: $vgpr8
                                        ; implicit-def: $vgpr9
	s_delay_alu instid0(VALU_DEP_3)
	v_cmpx_ne_u64_e64 v[4:5], v[14:15]
	s_cbranch_execz .LBB6_33
; %bb.22:
	v_sub_co_u32 v20, vcc_lo, v4, v14
	v_sub_co_ci_u32_e32 v21, vcc_lo, v5, v15, vcc_lo
	v_mov_b32_e32 v1, 0
	s_delay_alu instid0(VALU_DEP_2) | instskip(NEXT) | instid1(VALU_DEP_1)
	v_ashrrev_i32_e32 v0, 31, v21
	v_lshrrev_b32_e32 v0, 23, v0
	s_delay_alu instid0(VALU_DEP_1) | instskip(SKIP_1) | instid1(VALU_DEP_2)
	v_add_co_u32 v5, vcc_lo, v20, v0
	v_add_co_ci_u32_e32 v6, vcc_lo, 0, v21, vcc_lo
	v_and_b32_e32 v0, 0xfffffe00, v5
	s_delay_alu instid0(VALU_DEP_2) | instskip(NEXT) | instid1(VALU_DEP_2)
	v_ashrrev_i64 v[8:9], 9, v[5:6]
	v_sub_co_u32 v2, vcc_lo, v20, v0
	v_add_co_u32 v5, s0, v0, v14
	v_sub_co_ci_u32_e32 v3, vcc_lo, v21, v6, vcc_lo
	v_add_co_ci_u32_e64 v6, s0, v6, v15, s0
	s_mov_b32 s0, exec_lo
	s_delay_alu instid0(VALU_DEP_2)
	v_cmpx_lt_i64_e32 15, v[2:3]
; %bb.23:
	v_and_b32_e32 v0, 15, v4
	s_delay_alu instid0(VALU_DEP_1) | instskip(SKIP_3) | instid1(VALU_DEP_4)
	v_sub_co_u32 v2, vcc_lo, v2, v0
	v_subrev_co_ci_u32_e32 v3, vcc_lo, 0, v3, vcc_lo
	v_add_co_u32 v8, vcc_lo, v8, 1
	v_add_co_ci_u32_e32 v9, vcc_lo, 0, v9, vcc_lo
	v_add_co_u32 v5, vcc_lo, v2, v5
	s_delay_alu instid0(VALU_DEP_4)
	v_add_co_ci_u32_e32 v6, vcc_lo, v3, v6, vcc_lo
	v_dual_mov_b32 v3, v1 :: v_dual_mov_b32 v2, v0
; %bb.24:
	s_or_b32 exec_lo, exec_lo, s0
	v_lshlrev_b32_e32 v0, 5, v7
	s_mov_b32 s4, exec_lo
	s_delay_alu instid0(VALU_DEP_1) | instskip(NEXT) | instid1(VALU_DEP_1)
	v_sub_nc_u32_e32 v0, v17, v0
	v_ashrrev_i32_e32 v1, 31, v0
	s_delay_alu instid0(VALU_DEP_1) | instskip(NEXT) | instid1(VALU_DEP_1)
	v_lshrrev_b32_e32 v1, 27, v1
	v_add_nc_u32_e32 v1, v0, v1
	s_delay_alu instid0(VALU_DEP_1) | instskip(SKIP_1) | instid1(VALU_DEP_2)
	v_and_b32_e32 v4, 0xffffffe0, v1
	v_ashrrev_i32_e32 v7, 5, v1
	v_sub_nc_u32_e32 v4, v0, v4
	s_delay_alu instid0(VALU_DEP_2) | instskip(NEXT) | instid1(VALU_DEP_2)
	v_ashrrev_i32_e32 v17, 31, v7
	v_lshlrev_b32_e32 v0, 4, v4
	s_delay_alu instid0(VALU_DEP_1) | instskip(SKIP_1) | instid1(VALU_DEP_1)
	v_lshl_add_u32 v22, v7, 9, v0
	v_sub_co_u32 v7, s0, v8, v7
	v_sub_co_ci_u32_e64 v8, s0, v9, v17, s0
	s_delay_alu instid0(VALU_DEP_3) | instskip(SKIP_1) | instid1(VALU_DEP_2)
	v_ashrrev_i32_e32 v23, 31, v22
	v_sub_co_u32 v0, vcc_lo, v20, v22
	v_sub_co_ci_u32_e32 v1, vcc_lo, v21, v23, vcc_lo
	s_delay_alu instid0(VALU_DEP_1)
	v_cmpx_lt_i64_e32 15, v[0:1]
	s_cbranch_execz .LBB6_28
; %bb.25:
	v_ashrrev_i32_e32 v9, 31, v16
	v_add_co_u32 v24, vcc_lo, v18, v14
	v_add_co_ci_u32_e32 v25, vcc_lo, v19, v15, vcc_lo
	s_delay_alu instid0(VALU_DEP_3) | instskip(SKIP_1) | instid1(VALU_DEP_1)
	v_lshrrev_b32_e32 v9, 27, v9
	s_mov_b32 s5, 0
	v_add_nc_u32_e32 v9, v16, v9
	s_delay_alu instid0(VALU_DEP_1) | instskip(NEXT) | instid1(VALU_DEP_1)
	v_ashrrev_i32_e32 v9, 5, v9
	v_lshlrev_b32_e32 v17, 9, v9
	v_ashrrev_i32_e32 v14, 31, v9
	s_delay_alu instid0(VALU_DEP_2) | instskip(SKIP_1) | instid1(VALU_DEP_2)
	v_add_nc_u32_e32 v20, 0xfffffe00, v17
	v_ashrrev_i32_e32 v15, 31, v17
	v_ashrrev_i32_e32 v21, 31, v20
	v_add_co_u32 v20, vcc_lo, 0x200, v20
	s_delay_alu instid0(VALU_DEP_2)
	v_add_co_ci_u32_e32 v21, vcc_lo, 0, v21, vcc_lo
	v_add_co_u32 v22, vcc_lo, v24, v22
	v_add_co_ci_u32_e32 v23, vcc_lo, v25, v23, vcc_lo
	.p2align	6
.LBB6_26:                               ; =>This Inner Loop Header: Depth=1
	s_delay_alu instid0(VALU_DEP_2) | instskip(NEXT) | instid1(VALU_DEP_2)
	v_add_co_u32 v24, vcc_lo, v12, v22
	v_add_co_ci_u32_e32 v25, vcc_lo, v13, v23, vcc_lo
	v_add_co_u32 v28, vcc_lo, v10, v22
	v_add_co_ci_u32_e32 v29, vcc_lo, v11, v23, vcc_lo
	global_load_b128 v[24:27], v[24:25], off slc dlc
	v_sub_co_u32 v0, vcc_lo, v0, v17
	v_sub_co_ci_u32_e32 v1, vcc_lo, v1, v15, vcc_lo
	v_sub_co_u32 v7, vcc_lo, v7, v9
	v_sub_co_ci_u32_e32 v8, vcc_lo, v8, v14, vcc_lo
	s_delay_alu instid0(VALU_DEP_3) | instskip(SKIP_1) | instid1(VALU_DEP_1)
	v_cmp_gt_i64_e32 vcc_lo, 16, v[0:1]
	v_add_co_u32 v22, s0, v22, v20
	v_add_co_ci_u32_e64 v23, s0, v23, v21, s0
	s_or_b32 s5, vcc_lo, s5
	s_waitcnt vmcnt(0)
	global_store_b128 v[28:29], v[24:27], off glc slc dlc
	s_and_not1_b32 exec_lo, exec_lo, s5
	s_cbranch_execnz .LBB6_26
; %bb.27:
	s_or_b32 exec_lo, exec_lo, s5
.LBB6_28:
	s_delay_alu instid0(SALU_CYCLE_1) | instskip(NEXT) | instid1(SALU_CYCLE_1)
	s_or_b32 exec_lo, exec_lo, s4
	s_mov_b32 s0, exec_lo
	v_cmpx_lt_i64_e32 0, v[7:8]
; %bb.29:
	v_ashrrev_i32_e32 v0, 31, v16
	s_delay_alu instid0(VALU_DEP_1) | instskip(NEXT) | instid1(VALU_DEP_1)
	v_lshrrev_b32_e32 v0, 27, v0
	v_add_nc_u32_e32 v0, v16, v0
	s_delay_alu instid0(VALU_DEP_1) | instskip(NEXT) | instid1(VALU_DEP_1)
	v_ashrrev_i32_e32 v0, 5, v0
	v_sub_co_u32 v7, vcc_lo, v7, v0
; %bb.30:
	s_or_b32 exec_lo, exec_lo, s0
	v_mov_b32_e32 v0, 0
	v_mov_b32_e32 v1, 0
	s_mov_b32 s0, 0
	s_mov_b32 s4, exec_lo
                                        ; implicit-def: $vgpr8
                                        ; implicit-def: $vgpr9
	v_cmpx_ne_u64_e32 0, v[2:3]
; %bb.31:
	v_lshlrev_b32_e32 v0, 5, v7
	s_mov_b32 s0, exec_lo
	s_delay_alu instid0(VALU_DEP_1) | instskip(NEXT) | instid1(VALU_DEP_1)
	v_sub_nc_u32_e32 v8, v4, v0
	v_ashrrev_i32_e32 v0, 31, v8
	s_delay_alu instid0(VALU_DEP_1) | instskip(NEXT) | instid1(VALU_DEP_1)
	v_lshrrev_b32_e32 v0, 27, v0
	v_add_nc_u32_e32 v0, v8, v0
	s_delay_alu instid0(VALU_DEP_1)
	v_ashrrev_i32_e32 v9, 5, v0
	v_dual_mov_b32 v0, v5 :: v_dual_mov_b32 v1, v6
; %bb.32:
	s_or_b32 exec_lo, exec_lo, s4
	v_dual_mov_b32 v5, v3 :: v_dual_mov_b32 v4, v2
	s_and_b32 s0, s0, exec_lo
.LBB6_33:
	s_or_b32 exec_lo, exec_lo, s3
	s_delay_alu instid0(SALU_CYCLE_1)
	s_and_b32 exec_lo, exec_lo, s0
	s_cbranch_execz .LBB6_42
.LBB6_34:
	v_ashrrev_i32_e32 v2, 31, v5
	s_mov_b32 s0, exec_lo
	s_delay_alu instid0(VALU_DEP_1) | instskip(NEXT) | instid1(VALU_DEP_1)
	v_lshrrev_b32_e32 v2, 23, v2
	v_add_co_u32 v2, vcc_lo, v4, v2
	v_add_co_ci_u32_e32 v3, vcc_lo, 0, v5, vcc_lo
	s_delay_alu instid0(VALU_DEP_1) | instskip(SKIP_1) | instid1(VALU_DEP_2)
	v_ashrrev_i64 v[6:7], 9, v[2:3]
	v_ashrrev_i32_e32 v3, 31, v9
	v_sub_co_u32 v2, vcc_lo, v6, v9
	s_delay_alu instid0(VALU_DEP_2) | instskip(NEXT) | instid1(VALU_DEP_1)
	v_sub_co_ci_u32_e32 v3, vcc_lo, v7, v3, vcc_lo
	v_cmpx_lt_i64_e32 0, v[2:3]
	s_cbranch_execz .LBB6_38
; %bb.35:
	v_ashrrev_i32_e32 v14, 31, v8
	v_ashrrev_i32_e32 v15, 31, v16
	v_add_co_u32 v25, vcc_lo, v18, v0
	v_add_co_ci_u32_e32 v26, vcc_lo, v19, v1, vcc_lo
	s_delay_alu instid0(VALU_DEP_4) | instskip(NEXT) | instid1(VALU_DEP_4)
	v_lshrrev_b32_e32 v14, 27, v14
	v_lshrrev_b32_e32 v15, 27, v15
	s_mov_b32 s3, 0
	s_delay_alu instid0(VALU_DEP_2) | instskip(NEXT) | instid1(VALU_DEP_2)
	v_add_nc_u32_e32 v14, v8, v14
	v_add_nc_u32_e32 v15, v16, v15
	s_delay_alu instid0(VALU_DEP_2) | instskip(NEXT) | instid1(VALU_DEP_2)
	v_and_b32_e32 v17, 0xffffffe0, v14
	v_ashrrev_i32_e32 v14, 5, v15
	s_delay_alu instid0(VALU_DEP_2) | instskip(NEXT) | instid1(VALU_DEP_2)
	v_sub_nc_u32_e32 v15, v8, v17
	v_lshl_add_u32 v23, v14, 9, 0xfffffe00
	v_add_co_u32 v17, vcc_lo, v25, v12
	v_add_co_ci_u32_e32 v20, vcc_lo, v26, v13, vcc_lo
	s_delay_alu instid0(VALU_DEP_3) | instskip(SKIP_3) | instid1(VALU_DEP_4)
	v_ashrrev_i32_e32 v24, 31, v23
	v_lshl_add_u32 v15, v9, 9, v15
	v_add_co_u32 v23, vcc_lo, 0x200, v23
	v_ashrrev_i32_e32 v21, 31, v14
	v_add_co_ci_u32_e32 v24, vcc_lo, 0, v24, vcc_lo
	v_add_co_u32 v25, vcc_lo, v25, v10
	v_ashrrev_i32_e32 v22, 31, v15
	v_add_co_ci_u32_e32 v26, vcc_lo, v26, v11, vcc_lo
.LBB6_36:                               ; =>This Inner Loop Header: Depth=1
	v_add_co_u32 v27, vcc_lo, v15, v17
	s_delay_alu instid0(VALU_DEP_3)
	v_add_co_ci_u32_e32 v28, vcc_lo, v22, v20, vcc_lo
	s_clause 0xf
	flat_load_u8 v29, v[27:28] slc dlc
	flat_load_u8 v30, v[27:28] offset:32 slc dlc
	flat_load_u8 v31, v[27:28] offset:64 slc dlc
	;; [unrolled: 1-line block ×15, first 2 shown]
	v_add_co_u32 v27, vcc_lo, v15, v25
	v_add_co_ci_u32_e32 v28, vcc_lo, v22, v26, vcc_lo
	v_sub_co_u32 v2, vcc_lo, v2, v14
	v_sub_co_ci_u32_e32 v3, vcc_lo, v3, v21, vcc_lo
	v_add_co_u32 v17, vcc_lo, v17, v23
	v_add_co_ci_u32_e32 v20, vcc_lo, v20, v24, vcc_lo
	v_add_co_u32 v25, vcc_lo, v25, v23
	v_add_co_ci_u32_e32 v26, vcc_lo, v26, v24, vcc_lo
	v_cmp_gt_i64_e32 vcc_lo, 1, v[2:3]
	s_waitcnt vmcnt(15) lgkmcnt(15)
	flat_store_b8 v[27:28], v29 glc slc dlc
	s_waitcnt vmcnt(14) lgkmcnt(15)
	flat_store_b8 v[27:28], v30 offset:32 glc slc dlc
	s_waitcnt vmcnt(13) lgkmcnt(15)
	flat_store_b8 v[27:28], v31 offset:64 glc slc dlc
	;; [unrolled: 2-line block ×15, first 2 shown]
	s_or_b32 s3, vcc_lo, s3
	s_delay_alu instid0(SALU_CYCLE_1)
	s_and_not1_b32 exec_lo, exec_lo, s3
	s_cbranch_execnz .LBB6_36
; %bb.37:
	s_or_b32 exec_lo, exec_lo, s3
.LBB6_38:
	s_delay_alu instid0(SALU_CYCLE_1) | instskip(SKIP_1) | instid1(VALU_DEP_1)
	s_or_b32 exec_lo, exec_lo, s0
	v_lshlrev_b64 v[6:7], 9, v[6:7]
	v_cmp_ne_u64_e32 vcc_lo, v[4:5], v[6:7]
	s_and_b32 exec_lo, exec_lo, vcc_lo
	s_cbranch_execz .LBB6_42
; %bb.39:
	v_lshlrev_b32_e32 v3, 5, v9
	v_lshlrev_b32_e32 v2, 5, v2
	s_delay_alu instid0(VALU_DEP_2) | instskip(NEXT) | instid1(VALU_DEP_1)
	v_sub_nc_u32_e32 v3, v8, v3
	v_sub_nc_u32_e32 v8, v3, v2
	s_delay_alu instid0(VALU_DEP_1) | instskip(SKIP_1) | instid1(VALU_DEP_2)
	v_ashrrev_i32_e32 v9, 31, v8
	v_add_co_u32 v2, vcc_lo, v6, v8
	v_add_co_ci_u32_e32 v3, vcc_lo, v7, v9, vcc_lo
	s_delay_alu instid0(VALU_DEP_2) | instskip(NEXT) | instid1(VALU_DEP_2)
	v_sub_co_u32 v2, vcc_lo, v4, v2
	v_sub_co_ci_u32_e32 v3, vcc_lo, v5, v3, vcc_lo
	s_delay_alu instid0(VALU_DEP_1)
	v_cmp_lt_i64_e32 vcc_lo, 0, v[2:3]
	s_and_b32 exec_lo, exec_lo, vcc_lo
	s_cbranch_execz .LBB6_42
; %bb.40:
	v_ashrrev_i32_e32 v4, 31, v16
	v_add_co_u32 v0, vcc_lo, v18, v0
	v_add_co_ci_u32_e32 v1, vcc_lo, v19, v1, vcc_lo
	s_delay_alu instid0(VALU_DEP_3) | instskip(NEXT) | instid1(VALU_DEP_3)
	v_lshrrev_b32_e32 v4, 27, v4
	v_add_co_u32 v6, vcc_lo, v0, v6
	s_delay_alu instid0(VALU_DEP_3) | instskip(NEXT) | instid1(VALU_DEP_3)
	v_add_co_ci_u32_e32 v7, vcc_lo, v1, v7, vcc_lo
	v_add_nc_u32_e32 v4, v16, v4
	s_mov_b32 s3, 0
	s_delay_alu instid0(VALU_DEP_1) | instskip(NEXT) | instid1(VALU_DEP_1)
	v_and_b32_e32 v4, 0xffffffe0, v4
	v_subrev_nc_u32_e32 v5, 32, v4
	v_ashrrev_i32_e32 v0, 31, v4
	s_delay_alu instid0(VALU_DEP_2) | instskip(SKIP_1) | instid1(VALU_DEP_2)
	v_ashrrev_i32_e32 v14, 31, v5
	v_add_co_u32 v1, vcc_lo, v5, 32
	v_add_co_ci_u32_e32 v5, vcc_lo, 0, v14, vcc_lo
	v_add_co_u32 v6, vcc_lo, v6, v8
	v_add_co_ci_u32_e32 v7, vcc_lo, v7, v9, vcc_lo
	.p2align	6
.LBB6_41:                               ; =>This Inner Loop Header: Depth=1
	s_delay_alu instid0(VALU_DEP_2) | instskip(NEXT) | instid1(VALU_DEP_2)
	v_add_co_u32 v8, vcc_lo, v12, v6
	v_add_co_ci_u32_e32 v9, vcc_lo, v13, v7, vcc_lo
	v_sub_co_u32 v2, vcc_lo, v2, v4
	v_sub_co_ci_u32_e32 v3, vcc_lo, v3, v0, vcc_lo
	flat_load_u8 v14, v[8:9] slc dlc
	v_add_co_u32 v8, vcc_lo, v10, v6
	v_add_co_ci_u32_e32 v9, vcc_lo, v11, v7, vcc_lo
	v_cmp_gt_i64_e32 vcc_lo, 1, v[2:3]
	v_add_co_u32 v6, s0, v6, v1
	s_delay_alu instid0(VALU_DEP_1)
	v_add_co_ci_u32_e64 v7, s0, v7, v5, s0
	s_or_b32 s3, vcc_lo, s3
	s_waitcnt vmcnt(0) lgkmcnt(0)
	flat_store_b8 v[8:9], v14 glc slc dlc
	s_and_not1_b32 exec_lo, exec_lo, s3
	s_cbranch_execnz .LBB6_41
.LBB6_42:
	s_or_b32 exec_lo, exec_lo, s2
                                        ; implicit-def: $vgpr16_vgpr17
                                        ; implicit-def: $vgpr14_vgpr15
                                        ; implicit-def: $vgpr18_vgpr19
                                        ; implicit-def: $vgpr4_vgpr5
                                        ; implicit-def: $vgpr2
                                        ; implicit-def: $vgpr0
                                        ; implicit-def: $vgpr31
                                        ; implicit-def: $vgpr12_vgpr13
                                        ; implicit-def: $vgpr8_vgpr9
                                        ; implicit-def: $vgpr17
.LBB6_43:
	s_and_not1_saveexec_b32 s11, s1
	s_cbranch_execz .LBB6_462
; %bb.44:
	s_load_b32 s0, s[8:9], 0x0
	v_mov_b32_e32 v1, 0
	s_mov_b32 s2, 0
	s_waitcnt lgkmcnt(0)
	s_cmp_lt_u32 s12, s0
	s_cselect_b32 s0, 12, 18
	s_delay_alu instid0(SALU_CYCLE_1)
	s_add_u32 s0, s8, s0
	s_addc_u32 s1, s9, 0
	global_load_u16 v3, v1, s[0:1]
	s_cbranch_execnz .LBB6_50
; %bb.45:
	ds_load_b32 v6, v0
	v_ashrrev_i32_e32 v1, 31, v0
	s_delay_alu instid0(VALU_DEP_1) | instskip(NEXT) | instid1(VALU_DEP_1)
	v_lshrrev_b32_e32 v7, 27, v1
	v_add_nc_u32_e32 v20, v0, v7
	v_lshrrev_b64 v[7:8], 31, v[8:9]
	s_delay_alu instid0(VALU_DEP_2) | instskip(NEXT) | instid1(VALU_DEP_2)
	v_and_b32_e32 v8, 0xffffffe0, v20
	v_and_b32_e32 v9, 3, v7
	s_waitcnt lgkmcnt(0)
	v_cmp_gt_i32_e32 vcc_lo, 0, v6
	s_delay_alu instid0(VALU_DEP_3)
	v_sub_nc_u32_e32 v8, v0, v8
	v_readfirstlane_b32 s1, v6
	s_cbranch_vccnz .LBB6_52
; %bb.46:
	s_delay_alu instid0(VALU_DEP_2)
	v_cmp_eq_u32_e32 vcc_lo, 0, v8
	s_cbranch_execnz .LBB6_56
; %bb.47:
	ds_load_b64 v[20:21], v0
	v_dual_mov_b32 v7, 0 :: v_dual_and_b32 v22, 0xffff, v9
	s_mov_b32 s2, 1
	s_delay_alu instid0(VALU_DEP_1) | instskip(SKIP_1) | instid1(VALU_DEP_1)
	v_lshlrev_b64 v[6:7], 3, v[6:7]
	s_waitcnt lgkmcnt(0)
	v_add_co_u32 v6, s0, v20, v6
	s_delay_alu instid0(VALU_DEP_1)
	v_add_co_ci_u32_e64 v7, s0, v21, v7, s0
	flat_load_b64 v[6:7], v[6:7]
	s_waitcnt vmcnt(0) lgkmcnt(0)
	v_mad_u64_u32 v[20:21], null, 0xa8, v22, v[6:7]
	s_clause 0x1
	flat_load_b64 v[22:23], v[20:21] offset:504
	flat_load_b64 v[24:25], v[20:21] offset:608
	v_add_co_u32 v6, s0, 0x1f8, v20
	s_delay_alu instid0(VALU_DEP_1) | instskip(NEXT) | instid1(VALU_DEP_1)
	v_add_co_ci_u32_e64 v7, s0, 0, v21, s0
	v_dual_cndmask_b32 v20, 0, v6 :: v_dual_cndmask_b32 v21, 0, v7
	s_cbranch_execz .LBB6_53
.LBB6_48:
	s_trap 2
	s_sendmsg_rtn_b32 s0, sendmsg(MSG_RTN_GET_DOORBELL)
	s_mov_b32 ttmp2, m0
	s_waitcnt lgkmcnt(0)
	s_and_b32 s0, s0, 0x3ff
	s_delay_alu instid0(SALU_CYCLE_1) | instskip(NEXT) | instid1(SALU_CYCLE_1)
	s_bitset1_b32 s0, 10
	s_mov_b32 m0, s0
	s_sendmsg sendmsg(MSG_INTERRUPT)
	s_mov_b32 m0, ttmp2
.LBB6_49:                               ; =>This Inner Loop Header: Depth=1
	s_sethalt 5
	s_branch .LBB6_49
.LBB6_50:
	s_trap 2
	s_sendmsg_rtn_b32 s0, sendmsg(MSG_RTN_GET_DOORBELL)
	s_mov_b32 ttmp2, m0
	s_waitcnt lgkmcnt(0)
	s_and_b32 s0, s0, 0x3ff
	s_delay_alu instid0(SALU_CYCLE_1) | instskip(NEXT) | instid1(SALU_CYCLE_1)
	s_bitset1_b32 s0, 10
	s_mov_b32 m0, s0
	s_sendmsg sendmsg(MSG_INTERRUPT)
	s_mov_b32 m0, ttmp2
.LBB6_51:                               ; =>This Inner Loop Header: Depth=1
	s_sethalt 5
	s_branch .LBB6_51
.LBB6_52:
	v_mov_b32_e32 v20, 0
	v_mov_b32_e32 v21, 0
                                        ; implicit-def: $vgpr24_vgpr25
                                        ; implicit-def: $vgpr22_vgpr23
	s_cbranch_execnz .LBB6_48
.LBB6_53:
	ds_load_b32 v6, v0
	v_mov_b32_e32 v28, 0
	v_mov_b32_e32 v29, 0
	s_waitcnt lgkmcnt(0)
	v_cmp_gt_i32_e32 vcc_lo, 0, v6
	s_cbranch_vccnz .LBB6_58
; %bb.54:
	s_cbranch_execnz .LBB6_65
; %bb.55:
	ds_load_b64 v[26:27], v0
	v_mov_b32_e32 v7, 0
	v_and_b32_e32 v9, 0xffff, v9
	s_delay_alu instid0(VALU_DEP_2) | instskip(SKIP_1) | instid1(VALU_DEP_1)
	v_lshlrev_b64 v[6:7], 3, v[6:7]
	s_waitcnt lgkmcnt(0)
	v_add_co_u32 v6, vcc_lo, v26, v6
	s_delay_alu instid0(VALU_DEP_2)
	v_add_co_ci_u32_e32 v7, vcc_lo, v27, v7, vcc_lo
	v_cmp_eq_u32_e32 vcc_lo, 0, v8
	flat_load_b64 v[6:7], v[6:7]
	s_waitcnt vmcnt(0) lgkmcnt(0)
	v_mad_u64_u32 v[26:27], null, 0xa8, v9, v[6:7]
	s_clause 0x1
	flat_load_b64 v[32:33], v[26:27]
	flat_load_b64 v[34:35], v[26:27] offset:104
	v_dual_cndmask_b32 v26, 0, v26 :: v_dual_cndmask_b32 v27, 0, v27
	s_branch .LBB6_59
.LBB6_56:
	s_trap 2
	s_sendmsg_rtn_b32 s0, sendmsg(MSG_RTN_GET_DOORBELL)
	s_mov_b32 ttmp2, m0
	s_waitcnt lgkmcnt(0)
	s_and_b32 s0, s0, 0x3ff
	s_delay_alu instid0(SALU_CYCLE_1) | instskip(NEXT) | instid1(SALU_CYCLE_1)
	s_bitset1_b32 s0, 10
	s_mov_b32 m0, s0
	s_sendmsg sendmsg(MSG_INTERRUPT)
	s_mov_b32 m0, ttmp2
.LBB6_57:                               ; =>This Inner Loop Header: Depth=1
	s_sethalt 5
	s_branch .LBB6_57
.LBB6_58:
	s_delay_alu instid0(VALU_DEP_2)
	v_dual_mov_b32 v26, v28 :: v_dual_mov_b32 v27, v29
                                        ; implicit-def: $vgpr34_vgpr35
                                        ; implicit-def: $vgpr32_vgpr33
.LBB6_59:
	v_subrev_nc_u32_e32 v6, 32, v2
	v_cmp_gt_i32_e64 s0, s2, v8
                                        ; implicit-def: $vgpr36_vgpr37
	s_delay_alu instid0(VALU_DEP_2) | instskip(NEXT) | instid1(VALU_DEP_2)
	v_cmp_le_i32_e32 vcc_lo, v6, v0
	s_and_b32 s12, vcc_lo, s0
	s_delay_alu instid0(SALU_CYCLE_1)
	s_and_saveexec_b32 s0, s12
; %bb.60:
	s_clause 0x1
	flat_load_b64 v[28:29], v[20:21] offset:56
	flat_load_b64 v[36:37], v[20:21] offset:104
; %bb.61:
	s_or_b32 exec_lo, exec_lo, s0
	v_mov_b32_e32 v50, 0
	v_mov_b32_e32 v51, 0
	v_cmp_gt_i32_e64 s0, s2, v0
	s_delay_alu instid0(VALU_DEP_3) | instskip(SKIP_1) | instid1(VALU_DEP_4)
	v_mov_b32_e32 v6, v50
	v_mov_b32_e32 v38, v50
                                        ; implicit-def: $vgpr48_vgpr49
	v_mov_b32_e32 v39, v51
	v_mov_b32_e32 v7, v51
	s_and_saveexec_b32 s2, s0
	s_cbranch_execz .LBB6_63
; %bb.62:
	flat_load_b64 v[38:39], v[26:27] offset:56
	s_waitcnt vmcnt(0) lgkmcnt(0)
	flat_load_b64 v[48:49], v[38:39] glc dlc
	s_waitcnt vmcnt(0)
	flat_load_b128 v[6:9], v[26:27] offset:96
.LBB6_63:
	s_or_b32 exec_lo, exec_lo, s2
	s_waitcnt vmcnt(0)
	v_and_b32_e32 v30, 0xffff, v3
	s_mov_b32 s13, exec_lo
	v_cmpx_ne_u64_e32 0, v[4:5]
	s_cbranch_execz .LBB6_372
; %bb.64:
	v_cvt_f64_u32_e32 v[50:51], 0
	v_dual_mov_b32 v80, 0 :: v_dual_lshlrev_b32 v3, 4, v16
	v_dual_mov_b32 v119, 0 :: v_dual_lshlrev_b32 v100, 3, v0
	s_ashr_i32 s2, s1, 31
	s_delay_alu instid0(VALU_DEP_2) | instskip(SKIP_1) | instid1(VALU_DEP_3)
	v_and_b32_e32 v98, 0x1fffff0, v3
	v_ashrrev_i32_e32 v3, 31, v2
	v_ashrrev_i32_e32 v103, 31, v100
	v_add_co_u32 v112, vcc_lo, v10, v100
	s_delay_alu instid0(VALU_DEP_4) | instskip(SKIP_1) | instid1(VALU_DEP_3)
	v_cvt_f64_u32_e32 v[52:53], v98
	s_lshr_b32 s2, s2, 29
	v_add_co_ci_u32_e32 v113, vcc_lo, v11, v103, vcc_lo
	v_add_co_u32 v64, vcc_lo, v18, v12
	v_cmp_ne_u64_e64 s9, v[12:13], v[10:11]
	v_and_b32_e32 v12, 0x1fffff, v16
	s_add_i32 s1, s1, s2
	v_add_co_ci_u32_e32 v65, vcc_lo, v19, v13, vcc_lo
	s_ashr_i32 s14, s1, 7
	v_cmp_ne_u32_e64 s1, v14, v17
	v_add_co_u32 v66, vcc_lo, v64, v100
	v_lshlrev_b32_e32 v115, 7, v12
	v_lshlrev_b64 v[12:13], 4, v[0:1]
	v_add_co_ci_u32_e32 v67, vcc_lo, v65, v103, vcc_lo
	v_cmp_ne_u32_e64 s2, v15, v17
	v_dual_mov_b32 v118, 1 :: v_dual_and_b32 v15, 31, v31
	v_add_co_u32 v70, vcc_lo, v10, v18
	v_add_co_ci_u32_e32 v71, vcc_lo, v11, v19, vcc_lo
	s_waitcnt lgkmcnt(1)
	v_add_co_u32 v1, vcc_lo, v32, v12
	v_ldexp_f64 v[50:51], v[50:51], 32
	v_cmp_ne_u64_e64 s3, 0, v[38:39]
	s_waitcnt lgkmcnt(0)
	v_cmp_ne_u64_e64 s4, 0, v[6:7]
	v_cmp_ne_u64_e64 s8, 0, v[28:29]
	v_lshlrev_b64 v[68:69], 4, v[2:3]
	v_cmp_ne_u32_e64 s5, 32, v2
	v_cmp_ne_u32_e64 s6, v2, v30
	v_cmp_eq_u32_e64 s7, 0, v15
	v_lshlrev_b32_e32 v116, 6, v2
	v_add_co_ci_u32_e32 v117, vcc_lo, v33, v13, vcc_lo
	s_xor_b32 s10, s10, -1
	s_mov_b32 s15, 0
	s_and_b32 s16, s10, s9
	v_dual_mov_b32 v81, 0 :: v_dual_lshlrev_b32 v102, 3, v2
	v_add_f64 v[50:51], v[50:51], v[52:53]
	v_lshrrev_b32_e32 v52, 27, v3
	v_lshlrev_b32_e32 v3, 3, v66
	s_delay_alu instid0(VALU_DEP_2) | instskip(NEXT) | instid1(VALU_DEP_1)
	v_dual_mov_b32 v53, 0 :: v_dual_add_nc_u32 v14, v2, v52
	v_ashrrev_i32_e32 v99, 5, v14
	s_delay_alu instid0(VALU_DEP_1)
	v_ashrrev_i32_e32 v101, 31, v99
	v_max_f64 v[54:55], v[50:51], v[50:51]
	v_dual_mov_b32 v50, v80 :: v_dual_mov_b32 v51, v81
	v_ashrrev_i32_e32 v114, 31, v102
	s_branch .LBB6_70
.LBB6_65:
	s_trap 2
	s_sendmsg_rtn_b32 s0, sendmsg(MSG_RTN_GET_DOORBELL)
	s_mov_b32 ttmp2, m0
	s_waitcnt lgkmcnt(0)
	s_and_b32 s0, s0, 0x3ff
	s_delay_alu instid0(SALU_CYCLE_1) | instskip(NEXT) | instid1(SALU_CYCLE_1)
	s_bitset1_b32 s0, 10
	s_mov_b32 m0, s0
	s_sendmsg sendmsg(MSG_INTERRUPT)
	s_mov_b32 m0, ttmp2
.LBB6_66:                               ; =>This Inner Loop Header: Depth=1
	s_sethalt 5
	s_branch .LBB6_66
.LBB6_67:                               ;   in Loop: Header=BB6_70 Depth=1
	s_or_b32 exec_lo, exec_lo, s18
	v_add_co_u32 v34, vcc_lo, v34, 1
	v_add_co_ci_u32_e32 v35, vcc_lo, 0, v35, vcc_lo
.LBB6_68:                               ;   in Loop: Header=BB6_70 Depth=1
	s_or_b32 exec_lo, exec_lo, s10
.LBB6_69:                               ;   in Loop: Header=BB6_70 Depth=1
	s_delay_alu instid0(SALU_CYCLE_1)
	s_or_b32 exec_lo, exec_lo, s17
	v_add_co_u32 v80, vcc_lo, v80, v98
	v_add_co_ci_u32_e32 v81, vcc_lo, 0, v81, vcc_lo
	v_add_co_u32 v64, vcc_lo, v64, v98
	v_add_co_ci_u32_e32 v65, vcc_lo, 0, v65, vcc_lo
	;; [unrolled: 2-line block ×3, first 2 shown]
	v_cmp_ge_u64_e32 vcc_lo, v[80:81], v[4:5]
	v_add_co_u32 v66, s9, v66, v98
	v_add_nc_u32_e32 v3, v3, v115
	v_add_co_ci_u32_e64 v67, s9, 0, v67, s9
	s_or_b32 s15, vcc_lo, s15
	s_delay_alu instid0(SALU_CYCLE_1)
	s_and_not1_b32 exec_lo, exec_lo, s15
	s_cbranch_execz .LBB6_371
.LBB6_70:                               ; =>This Loop Header: Depth=1
                                        ;     Child Loop BB6_79 Depth 2
                                        ;     Child Loop BB6_99 Depth 2
	;; [unrolled: 1-line block ×3, first 2 shown]
                                        ;       Child Loop BB6_119 Depth 3
                                        ;     Child Loop BB6_161 Depth 2
                                        ;     Child Loop BB6_178 Depth 2
	;; [unrolled: 1-line block ×3, first 2 shown]
                                        ;       Child Loop BB6_188 Depth 3
                                        ;     Child Loop BB6_226 Depth 2
                                        ;     Child Loop BB6_252 Depth 2
	;; [unrolled: 1-line block ×9, first 2 shown]
	v_sub_co_u32 v12, vcc_lo, v4, v80
	v_sub_co_ci_u32_e32 v10, vcc_lo, v5, v81, vcc_lo
	s_delay_alu instid0(VALU_DEP_2) | instskip(NEXT) | instid1(VALU_DEP_2)
	v_cvt_f64_u32_e32 v[12:13], v12
	v_cvt_f64_u32_e32 v[10:11], v10
	s_delay_alu instid0(VALU_DEP_1) | instskip(NEXT) | instid1(VALU_DEP_1)
	v_ldexp_f64 v[10:11], v[10:11], 32
	v_add_f64 v[10:11], v[10:11], v[12:13]
	s_delay_alu instid0(VALU_DEP_1) | instskip(NEXT) | instid1(VALU_DEP_1)
	v_min_f64 v[10:11], v[54:55], v[10:11]
	v_cvt_i32_f64_e32 v10, v[10:11]
	s_delay_alu instid0(VALU_DEP_1) | instskip(SKIP_1) | instid1(SALU_CYCLE_1)
	v_max_i32_e32 v12, 0, v10
	s_and_saveexec_b32 s9, s1
	s_xor_b32 s17, exec_lo, s9
	s_cbranch_execz .LBB6_243
; %bb.71:                               ;   in Loop: Header=BB6_70 Depth=1
	v_add_co_u32 v13, vcc_lo, v80, v18
	v_add_co_ci_u32_e32 v15, vcc_lo, v81, v19, vcc_lo
	s_and_saveexec_b32 s9, s2
	s_delay_alu instid0(SALU_CYCLE_1)
	s_xor_b32 s18, exec_lo, s9
	s_cbranch_execz .LBB6_180
; %bb.72:                               ;   in Loop: Header=BB6_70 Depth=1
	s_and_saveexec_b32 s9, s3
	s_cbranch_execz .LBB6_90
; %bb.73:                               ;   in Loop: Header=BB6_70 Depth=1
	v_add_co_u32 v10, vcc_lo, v8, 1
	v_add_co_ci_u32_e32 v11, vcc_lo, 0, v9, vcc_lo
	s_waitcnt vmcnt(0) lgkmcnt(0)
	v_add_co_u32 v16, vcc_lo, v48, 8
	v_add_co_ci_u32_e32 v17, vcc_lo, 0, v49, vcc_lo
	s_mov_b32 s10, exec_lo
	s_delay_alu instid0(VALU_DEP_1)
	v_cmpx_lt_u64_e64 v[16:17], v[10:11]
	s_cbranch_execz .LBB6_87
; %bb.74:                               ;   in Loop: Header=BB6_70 Depth=1
	s_sleep 1
	flat_load_b64 v[48:49], v[38:39] glc
	v_cmp_eq_u32_e32 vcc_lo, 0, v119
	s_and_saveexec_b32 s19, vcc_lo
	s_cbranch_execz .LBB6_86
; %bb.75:                               ;   in Loop: Header=BB6_70 Depth=1
	v_cndmask_b32_e64 v9, 0, 1, vcc_lo
	s_mov_b32 s20, 0
                                        ; implicit-def: $sgpr21
	s_branch .LBB6_79
.LBB6_76:                               ;   in Loop: Header=BB6_79 Depth=2
	s_or_b32 exec_lo, exec_lo, s24
	s_delay_alu instid0(SALU_CYCLE_1)
	s_or_not1_b32 s24, s25, exec_lo
.LBB6_77:                               ;   in Loop: Header=BB6_79 Depth=2
	s_or_b32 exec_lo, exec_lo, s23
	s_xor_b32 s23, s24, -1
	s_and_not1_b32 s21, s21, exec_lo
	s_and_b32 s23, s23, exec_lo
	s_delay_alu instid0(SALU_CYCLE_1)
	s_or_b32 s21, s21, s23
.LBB6_78:                               ;   in Loop: Header=BB6_79 Depth=2
	s_or_b32 exec_lo, exec_lo, s22
	s_delay_alu instid0(SALU_CYCLE_1) | instskip(NEXT) | instid1(SALU_CYCLE_1)
	s_and_b32 s22, exec_lo, s21
	s_or_b32 s20, s22, s20
	s_delay_alu instid0(SALU_CYCLE_1)
	s_and_not1_b32 exec_lo, exec_lo, s20
	s_cbranch_execz .LBB6_85
.LBB6_79:                               ;   Parent Loop BB6_70 Depth=1
                                        ; =>  This Inner Loop Header: Depth=2
	s_waitcnt vmcnt(0) lgkmcnt(0)
	v_add_co_u32 v16, vcc_lo, v48, 8
	v_add_co_ci_u32_e32 v17, vcc_lo, 0, v49, vcc_lo
	v_mov_b32_e32 v119, 0
	s_or_b32 s21, s21, exec_lo
	s_mov_b32 s22, exec_lo
	s_delay_alu instid0(VALU_DEP_2)
	v_cmpx_lt_u64_e64 v[16:17], v[10:11]
	s_cbranch_execz .LBB6_78
; %bb.80:                               ;   in Loop: Header=BB6_79 Depth=2
	s_sleep 1
	flat_load_b64 v[48:49], v[38:39] glc
	v_add_nc_u32_e32 v9, 1, v9
	v_mov_b32_e32 v119, 0
	s_mov_b32 s24, -1
	s_mov_b32 s23, exec_lo
	s_delay_alu instid0(VALU_DEP_2)
	v_cmpx_eq_u32_e32 0x2710, v9
	s_cbranch_execz .LBB6_77
; %bb.81:                               ;   in Loop: Header=BB6_79 Depth=2
	s_cbranch_execnz .LBB6_384
; %bb.82:                               ;   in Loop: Header=BB6_79 Depth=2
	ds_load_b64 v[16:17], v0
	v_mov_b32_e32 v9, 0
	v_mov_b32_e32 v119, 0
	s_mov_b32 s25, -1
	s_mov_b32 s24, exec_lo
	s_waitcnt vmcnt(0) lgkmcnt(0)
	s_waitcnt_vscnt null, 0x0
	flat_load_b32 v14, v[16:17] glc
	s_waitcnt vmcnt(0) lgkmcnt(0)
	buffer_gl1_inv
	buffer_gl0_inv
	v_cmpx_ne_u32_e32 0, v14
	s_cbranch_execz .LBB6_76
; %bb.83:                               ;   in Loop: Header=BB6_79 Depth=2
	ds_store_b32 v0, v14
	s_cbranch_execnz .LBB6_413
; %bb.84:                               ;   in Loop: Header=BB6_79 Depth=2
	v_mov_b32_e32 v119, 1
	s_xor_b32 s25, exec_lo, -1
	s_branch .LBB6_76
.LBB6_85:                               ;   in Loop: Header=BB6_70 Depth=1
	s_or_b32 exec_lo, exec_lo, s20
.LBB6_86:                               ;   in Loop: Header=BB6_70 Depth=1
	s_delay_alu instid0(SALU_CYCLE_1)
	s_or_b32 exec_lo, exec_lo, s19
.LBB6_87:                               ;   in Loop: Header=BB6_70 Depth=1
	s_delay_alu instid0(SALU_CYCLE_1)
	s_or_b32 exec_lo, exec_lo, s10
	s_and_saveexec_b32 s10, s4
	s_cbranch_execz .LBB6_89
; %bb.88:                               ;   in Loop: Header=BB6_70 Depth=1
	v_add_nc_u32_e32 v9, 7, v12
	v_and_b32_e32 v52, 0x7ffffff8, v8
	s_delay_alu instid0(VALU_DEP_2) | instskip(NEXT) | instid1(VALU_DEP_2)
	v_ashrrev_i32_e32 v14, 31, v9
	v_cmp_eq_u64_e32 vcc_lo, 0x7ffffff8, v[52:53]
	s_delay_alu instid0(VALU_DEP_2) | instskip(NEXT) | instid1(VALU_DEP_1)
	v_lshrrev_b32_e32 v14, 29, v14
	v_add_nc_u32_e32 v9, v9, v14
	v_and_b32_e32 v14, 7, v8
	s_delay_alu instid0(VALU_DEP_2) | instskip(NEXT) | instid1(VALU_DEP_2)
	v_lshrrev_b32_e32 v9, 3, v9
	v_mad_u64_u32 v[16:17], null, v14, 24, v[6:7]
	s_delay_alu instid0(VALU_DEP_2) | instskip(NEXT) | instid1(VALU_DEP_1)
	v_cndmask_b32_e64 v9, v9, s14, vcc_lo
	v_lshlrev_b32_e32 v8, 4, v9
	s_delay_alu instid0(VALU_DEP_1)
	v_ashrrev_i32_e32 v9, 31, v8
	flat_store_b64 v[16:17], v[8:9] offset:8 dlc
	s_waitcnt_vscnt null, 0x0
.LBB6_89:                               ;   in Loop: Header=BB6_70 Depth=1
	s_or_b32 exec_lo, exec_lo, s10
	v_dual_mov_b32 v8, v10 :: v_dual_mov_b32 v9, v11
.LBB6_90:                               ;   in Loop: Header=BB6_70 Depth=1
	s_or_b32 exec_lo, exec_lo, s9
	s_and_saveexec_b32 s9, s5
	s_cbranch_execz .LBB6_112
; %bb.91:                               ;   in Loop: Header=BB6_70 Depth=1
	s_and_saveexec_b32 s10, s6
	s_delay_alu instid0(SALU_CYCLE_1)
	s_xor_b32 s10, exec_lo, s10
	s_cbranch_execz .LBB6_109
; %bb.92:                               ;   in Loop: Header=BB6_70 Depth=1
	s_and_saveexec_b32 s19, s7
	s_cbranch_execz .LBB6_108
; %bb.93:                               ;   in Loop: Header=BB6_70 Depth=1
	s_mov_b32 s21, exec_lo
	s_mov_b32 s20, exec_lo
	v_mbcnt_lo_u32_b32 v10, s21, 0
	s_waitcnt vmcnt(0) lgkmcnt(0)
	s_waitcnt_vscnt null, 0x0
	buffer_gl1_inv
	buffer_gl0_inv
	v_cmpx_eq_u32_e32 0, v10
	s_cbranch_execz .LBB6_95
; %bb.94:                               ;   in Loop: Header=BB6_70 Depth=1
	s_bcnt1_i32_b32 s21, s21
	s_delay_alu instid0(SALU_CYCLE_1)
	v_mov_b32_e32 v52, s21
	ds_add_u64 v0, v[52:53]
	s_cbranch_execnz .LBB6_411
.LBB6_95:                               ;   in Loop: Header=BB6_70 Depth=1
	s_or_b32 exec_lo, exec_lo, s20
	s_cbranch_execnz .LBB6_405
; %bb.96:                               ;   in Loop: Header=BB6_70 Depth=1
	ds_load_b64 v[10:11], v0
	v_add_co_u32 v50, vcc_lo, v50, v99
	v_add_co_ci_u32_e32 v51, vcc_lo, v51, v101, vcc_lo
	s_mov_b32 s20, exec_lo
	s_waitcnt lgkmcnt(0)
	s_delay_alu instid0(VALU_DEP_1)
	v_cmpx_lt_u64_e64 v[10:11], v[50:51]
	s_cbranch_execz .LBB6_107
; %bb.97:                               ;   in Loop: Header=BB6_70 Depth=1
	s_mov_b32 s21, 0
	s_mov_b32 s24, 0
                                        ; implicit-def: $sgpr22
                                        ; implicit-def: $sgpr23
	s_branch .LBB6_99
.LBB6_98:                               ;   in Loop: Header=BB6_99 Depth=2
	s_or_b32 exec_lo, exec_lo, s27
	s_delay_alu instid0(SALU_CYCLE_1) | instskip(NEXT) | instid1(SALU_CYCLE_1)
	s_and_b32 s25, exec_lo, s26
	s_or_b32 s21, s25, s21
	s_and_not1_b32 s22, s22, exec_lo
	s_and_b32 s25, s23, exec_lo
	s_delay_alu instid0(SALU_CYCLE_1)
	s_or_b32 s22, s22, s25
	s_and_not1_b32 exec_lo, exec_lo, s21
	s_cbranch_execz .LBB6_105
.LBB6_99:                               ;   Parent Loop BB6_70 Depth=1
                                        ; =>  This Inner Loop Header: Depth=2
	s_add_i32 s24, s24, 1
                                        ; implicit-def: $sgpr26
	s_delay_alu instid0(SALU_CYCLE_1) | instskip(SKIP_1) | instid1(SALU_CYCLE_1)
	s_cmpk_lg_i32 s24, 0x2710
	s_cselect_b32 s25, -1, 0
	s_and_b32 vcc_lo, exec_lo, s25
	s_cbranch_vccz .LBB6_103
.LBB6_100:                              ;   in Loop: Header=BB6_99 Depth=2
	s_and_not1_b32 s23, s23, exec_lo
	s_and_b32 s27, s26, exec_lo
	s_mov_b32 s26, -1
	s_or_b32 s23, s23, s27
	s_and_saveexec_b32 s27, s25
	s_cbranch_execz .LBB6_98
; %bb.101:                              ;   in Loop: Header=BB6_99 Depth=2
	s_sleep 1
	s_cbranch_execnz .LBB6_435
; %bb.102:                              ;   in Loop: Header=BB6_99 Depth=2
	ds_load_b64 v[10:11], v0
	s_and_not1_b32 s23, s23, exec_lo
	s_waitcnt lgkmcnt(0)
	v_cmp_ge_u64_e32 vcc_lo, v[10:11], v[50:51]
	s_or_not1_b32 s26, vcc_lo, exec_lo
	s_branch .LBB6_98
.LBB6_103:                              ;   in Loop: Header=BB6_99 Depth=2
	s_cbranch_execnz .LBB6_437
; %bb.104:                              ;   in Loop: Header=BB6_99 Depth=2
	ds_load_b64 v[10:11], v0
	s_and_not1_b32 s25, s25, exec_lo
	s_mov_b32 s24, 0
	s_mov_b32 s26, -1
	s_waitcnt lgkmcnt(0)
	flat_load_b32 v10, v[10:11] glc
	s_waitcnt vmcnt(0) lgkmcnt(0)
	buffer_gl1_inv
	buffer_gl0_inv
	v_cmp_eq_u32_e32 vcc_lo, 0, v10
	s_and_b32 s27, vcc_lo, exec_lo
	s_delay_alu instid0(SALU_CYCLE_1)
	s_or_b32 s25, s25, s27
	s_branch .LBB6_100
.LBB6_105:                              ;   in Loop: Header=BB6_70 Depth=1
	s_or_b32 exec_lo, exec_lo, s21
	s_and_saveexec_b32 s21, s22
	s_delay_alu instid0(SALU_CYCLE_1)
	s_xor_b32 s21, exec_lo, s21
	s_cbranch_execz .LBB6_107
; %bb.106:                              ;   in Loop: Header=BB6_70 Depth=1
	ds_store_b32 v0, v118
	s_cbranch_execnz .LBB6_465
.LBB6_107:                              ;   in Loop: Header=BB6_70 Depth=1
	s_or_b32 exec_lo, exec_lo, s20
	;;#ASMSTART
	s_wakeup
	;;#ASMEND
.LBB6_108:                              ;   in Loop: Header=BB6_70 Depth=1
	s_or_b32 exec_lo, exec_lo, s19
.LBB6_109:                              ;   in Loop: Header=BB6_70 Depth=1
	s_and_not1_saveexec_b32 s10, s10
	s_cbranch_execz .LBB6_111
; %bb.110:                              ;   in Loop: Header=BB6_70 Depth=1
	s_waitcnt vmcnt(0) lgkmcnt(0)
	s_waitcnt_vscnt null, 0x0
	buffer_gl1_inv
	buffer_gl0_inv
	s_barrier
.LBB6_111:                              ;   in Loop: Header=BB6_70 Depth=1
	s_or_b32 exec_lo, exec_lo, s10
.LBB6_112:                              ;   in Loop: Header=BB6_70 Depth=1
	s_delay_alu instid0(SALU_CYCLE_1) | instskip(SKIP_3) | instid1(VALU_DEP_2)
	s_or_b32 exec_lo, exec_lo, s9
	v_sub_nc_u32_e32 v52, v12, v100
	v_mov_b32_e32 v82, v0
	s_mov_b32 s19, exec_lo
	v_cmpx_lt_i32_e32 0, v52
	s_cbranch_execz .LBB6_152
; %bb.113:                              ;   in Loop: Header=BB6_70 Depth=1
	v_and_b32_e32 v10, 7, v24
	v_dual_mov_b32 v14, v34 :: v_dual_and_b32 v11, 7, v34
	v_add_co_u32 v84, vcc_lo, v112, v13
	s_delay_alu instid0(VALU_DEP_3) | instskip(NEXT) | instid1(VALU_DEP_3)
	v_mul_lo_u32 v10, v10, s14
	v_mul_lo_u32 v16, v11, s14
	v_add_co_ci_u32_e32 v85, vcc_lo, v113, v15, vcc_lo
	v_add_nc_u32_e32 v128, 1, v24
	v_mov_b32_e32 v82, v0
	s_mov_b32 s20, 0
	v_ashrrev_i32_e32 v11, 31, v10
	v_ashrrev_i32_e32 v17, 31, v16
	s_delay_alu instid0(VALU_DEP_2) | instskip(NEXT) | instid1(VALU_DEP_2)
	v_lshlrev_b64 v[10:11], 4, v[10:11]
	v_lshlrev_b64 v[12:13], 4, v[16:17]
	s_delay_alu instid0(VALU_DEP_2) | instskip(NEXT) | instid1(VALU_DEP_3)
	v_add_co_u32 v129, vcc_lo, v22, v10
	v_add_co_ci_u32_e32 v130, vcc_lo, v23, v11, vcc_lo
	s_delay_alu instid0(VALU_DEP_3) | instskip(NEXT) | instid1(VALU_DEP_4)
	v_add_co_u32 v131, vcc_lo, v32, v12
	v_add_co_ci_u32_e32 v132, vcc_lo, v33, v13, vcc_lo
	v_add_co_u32 v133, vcc_lo, 0, 0
	v_add_co_ci_u32_e32 v11, vcc_lo, 1, v14, vcc_lo
	s_branch .LBB6_115
.LBB6_114:                              ;   in Loop: Header=BB6_115 Depth=2
	v_sub_nc_u32_e32 v52, v52, v102
	v_add_co_u32 v84, s9, v84, v102
	s_delay_alu instid0(VALU_DEP_1) | instskip(NEXT) | instid1(VALU_DEP_3)
	v_add_co_ci_u32_e64 v85, s9, v85, v114, s9
	v_cmp_gt_i32_e32 vcc_lo, 1, v52
	v_add_nc_u32_e32 v82, v82, v2
	s_or_b32 s20, vcc_lo, s20
	s_delay_alu instid0(SALU_CYCLE_1)
	s_and_not1_b32 exec_lo, exec_lo, s20
	s_cbranch_execz .LBB6_151
.LBB6_115:                              ;   Parent Loop BB6_70 Depth=1
                                        ; =>  This Loop Header: Depth=2
                                        ;       Child Loop BB6_119 Depth 3
	s_delay_alu instid0(VALU_DEP_1) | instskip(NEXT) | instid1(VALU_DEP_1)
	v_ashrrev_i32_e32 v83, 31, v82
	v_lshlrev_b64 v[12:13], 4, v[82:83]
	s_delay_alu instid0(VALU_DEP_1) | instskip(NEXT) | instid1(VALU_DEP_2)
	v_add_co_u32 v96, vcc_lo, v129, v12
	v_add_co_ci_u32_e32 v97, vcc_lo, v130, v13, vcc_lo
	;;#ASMSTART
	global_load_b128 v[14:17], v[96:97], off glc slc dlc
s_waitcnt vmcnt(0)

	;;#ASMEND
	v_lshrrev_b64 v[86:87], 24, v[14:15]
	v_cmp_eq_u32_e32 vcc_lo, 0, v119
	v_lshrrev_b32_e32 v83, 8, v14
	v_lshrrev_b32_e32 v87, 16, v14
	s_and_saveexec_b32 s21, vcc_lo
	s_cbranch_execz .LBB6_133
; %bb.116:                              ;   in Loop: Header=BB6_115 Depth=2
	v_cmp_ne_u32_e64 s9, v128, v15
	v_cmp_ne_u32_e64 s10, v128, v17
	v_mov_b32_e32 v119, 0
	s_delay_alu instid0(VALU_DEP_2) | instskip(NEXT) | instid1(SALU_CYCLE_1)
	s_or_b32 s9, s9, s10
	s_and_saveexec_b32 s10, s9
	s_cbranch_execz .LBB6_132
; %bb.117:                              ;   in Loop: Header=BB6_115 Depth=2
	v_cndmask_b32_e64 v10, 0, 1, vcc_lo
	s_mov_b32 s22, 0
                                        ; implicit-def: $sgpr23
                                        ; implicit-def: $sgpr24
	s_branch .LBB6_119
.LBB6_118:                              ;   in Loop: Header=BB6_119 Depth=3
	s_or_b32 exec_lo, exec_lo, s25
	s_delay_alu instid0(SALU_CYCLE_1) | instskip(NEXT) | instid1(SALU_CYCLE_1)
	s_and_b32 s9, exec_lo, s9
	s_or_b32 s22, s9, s22
	s_and_not1_b32 s9, s23, exec_lo
	s_and_b32 s23, s24, exec_lo
	s_delay_alu instid0(SALU_CYCLE_1)
	s_or_b32 s23, s9, s23
	s_and_not1_b32 exec_lo, exec_lo, s22
	s_cbranch_execz .LBB6_127
.LBB6_119:                              ;   Parent Loop BB6_70 Depth=1
                                        ;     Parent Loop BB6_115 Depth=2
                                        ; =>    This Inner Loop Header: Depth=3
	s_delay_alu instid0(VALU_DEP_1)
	v_dual_mov_b32 v119, 0 :: v_dual_add_nc_u32 v10, 1, v10
	s_mov_b32 s9, -1
	s_mov_b32 s26, -1
	s_mov_b32 s25, exec_lo
	;;#ASMSTART
	global_load_b128 v[14:17], v[96:97], off glc slc dlc
s_waitcnt vmcnt(0)

	;;#ASMEND
	v_cmpx_eq_u32_e32 0x2710, v10
	s_cbranch_execz .LBB6_125
; %bb.120:                              ;   in Loop: Header=BB6_119 Depth=3
	s_cbranch_execnz .LBB6_367
; %bb.121:                              ;   in Loop: Header=BB6_119 Depth=3
	ds_load_b64 v[86:87], v0
	v_dual_mov_b32 v10, 0 :: v_dual_mov_b32 v119, 0
	s_mov_b32 s27, -1
	s_mov_b32 s26, exec_lo
	s_waitcnt vmcnt(0) lgkmcnt(0)
	s_waitcnt_vscnt null, 0x0
	flat_load_b32 v83, v[86:87] glc
	s_waitcnt vmcnt(0) lgkmcnt(0)
	buffer_gl1_inv
	buffer_gl0_inv
	v_cmpx_ne_u32_e32 0, v83
	s_cbranch_execz .LBB6_124
; %bb.122:                              ;   in Loop: Header=BB6_119 Depth=3
	ds_store_b32 v0, v83
	s_cbranch_execnz .LBB6_386
; %bb.123:                              ;   in Loop: Header=BB6_119 Depth=3
	v_mov_b32_e32 v119, 1
	s_xor_b32 s27, exec_lo, -1
.LBB6_124:                              ;   in Loop: Header=BB6_119 Depth=3
	s_or_b32 exec_lo, exec_lo, s26
	s_delay_alu instid0(SALU_CYCLE_1)
	s_or_not1_b32 s26, s27, exec_lo
.LBB6_125:                              ;   in Loop: Header=BB6_119 Depth=3
	s_or_b32 exec_lo, exec_lo, s25
	s_delay_alu instid0(SALU_CYCLE_1)
	s_or_b32 s24, s24, exec_lo
	s_and_saveexec_b32 s25, s26
	s_cbranch_execz .LBB6_118
; %bb.126:                              ;   in Loop: Header=BB6_119 Depth=3
	v_cmp_eq_u32_e32 vcc_lo, v128, v15
	v_cmp_eq_u32_e64 s9, v128, v17
	s_and_not1_b32 s24, s24, exec_lo
	s_delay_alu instid0(VALU_DEP_1) | instskip(NEXT) | instid1(SALU_CYCLE_1)
	s_and_b32 s9, vcc_lo, s9
	s_or_not1_b32 s9, s9, exec_lo
	s_branch .LBB6_118
.LBB6_127:                              ;   in Loop: Header=BB6_115 Depth=2
	s_or_b32 exec_lo, exec_lo, s22
	s_xor_b32 s9, s23, -1
                                        ; implicit-def: $vgpr86
                                        ; implicit-def: $vgpr87
                                        ; implicit-def: $vgpr83
	s_delay_alu instid0(SALU_CYCLE_1) | instskip(NEXT) | instid1(SALU_CYCLE_1)
	s_and_saveexec_b32 s22, s9
	s_xor_b32 s9, exec_lo, s22
; %bb.128:                              ;   in Loop: Header=BB6_115 Depth=2
	v_lshrrev_b64 v[86:87], 24, v[14:15]
	v_lshrrev_b32_e32 v83, 8, v14
	v_lshrrev_b32_e32 v87, 16, v14
; %bb.129:                              ;   in Loop: Header=BB6_115 Depth=2
	s_and_not1_saveexec_b32 s9, s9
; %bb.130:                              ;   in Loop: Header=BB6_115 Depth=2
	v_lshrrev_b64 v[86:87], 24, v[14:15]
	v_lshrrev_b32_e32 v83, 8, v14
	v_lshrrev_b32_e32 v87, 16, v14
; %bb.131:                              ;   in Loop: Header=BB6_115 Depth=2
	s_or_b32 exec_lo, exec_lo, s9
.LBB6_132:                              ;   in Loop: Header=BB6_115 Depth=2
	s_delay_alu instid0(SALU_CYCLE_1)
	s_or_b32 exec_lo, exec_lo, s10
.LBB6_133:                              ;   in Loop: Header=BB6_115 Depth=2
	s_delay_alu instid0(SALU_CYCLE_1)
	s_or_b32 exec_lo, exec_lo, s21
	v_add_co_u32 v96, vcc_lo, v131, v12
	v_add_co_ci_u32_e32 v97, vcc_lo, v132, v13, vcc_lo
	v_cmp_lt_u32_e32 vcc_lo, 7, v52
	v_or_b32_e32 v10, v14, v133
	v_or_b32_e32 v12, v16, v133
	v_mov_b32_e32 v13, v11
	v_cndmask_b32_e64 v15, 0, 1, vcc_lo
	global_store_b128 v[96:97], v[10:13], off
	;;#ASMSTART
	;;#ASMEND
	v_cmp_ne_u32_e64 s9, 0, v15
	s_delay_alu instid0(VALU_DEP_1)
	s_cmp_lg_u32 s9, exec_lo
	s_mov_b32 s9, -1
	s_cbranch_scc0 .LBB6_149
; %bb.134:                              ;   in Loop: Header=BB6_115 Depth=2
	s_mov_b32 s10, exec_lo
	flat_store_b8 v[84:85], v14
	v_cmpx_ne_u32_e32 1, v52
	s_cbranch_execz .LBB6_136
; %bb.135:                              ;   in Loop: Header=BB6_115 Depth=2
	flat_store_b8 v[84:85], v83 offset:1
.LBB6_136:                              ;   in Loop: Header=BB6_115 Depth=2
	s_or_b32 exec_lo, exec_lo, s10
	s_delay_alu instid0(SALU_CYCLE_1)
	s_mov_b32 s10, exec_lo
	v_cmpx_lt_u32_e32 2, v52
	s_cbranch_execz .LBB6_138
; %bb.137:                              ;   in Loop: Header=BB6_115 Depth=2
	flat_store_b8 v[84:85], v87 offset:2
.LBB6_138:                              ;   in Loop: Header=BB6_115 Depth=2
	s_or_b32 exec_lo, exec_lo, s10
	s_delay_alu instid0(SALU_CYCLE_1)
	s_mov_b32 s10, exec_lo
	v_cmpx_lt_u32_e32 3, v52
	;; [unrolled: 8-line block ×4, first 2 shown]
	s_cbranch_execz .LBB6_144
; %bb.143:                              ;   in Loop: Header=BB6_115 Depth=2
	v_lshrrev_b32_e32 v10, 8, v16
	flat_store_b8 v[84:85], v10 offset:5
.LBB6_144:                              ;   in Loop: Header=BB6_115 Depth=2
	s_or_b32 exec_lo, exec_lo, s10
	s_delay_alu instid0(SALU_CYCLE_1)
	s_mov_b32 s10, exec_lo
	v_cmpx_lt_u32_e32 6, v52
	s_cbranch_execz .LBB6_146
; %bb.145:                              ;   in Loop: Header=BB6_115 Depth=2
	flat_store_d16_hi_b8 v[84:85], v16 offset:6
.LBB6_146:                              ;   in Loop: Header=BB6_115 Depth=2
	s_or_b32 exec_lo, exec_lo, s10
	s_and_saveexec_b32 s9, vcc_lo
	s_cbranch_execz .LBB6_148
; %bb.147:                              ;   in Loop: Header=BB6_115 Depth=2
	v_lshrrev_b32_e32 v10, 24, v16
	flat_store_b8 v[84:85], v10 offset:7
.LBB6_148:                              ;   in Loop: Header=BB6_115 Depth=2
	s_or_b32 exec_lo, exec_lo, s9
	s_mov_b32 s9, 0
.LBB6_149:                              ;   in Loop: Header=BB6_115 Depth=2
	s_delay_alu instid0(SALU_CYCLE_1)
	s_and_b32 vcc_lo, exec_lo, s9
	s_cbranch_vccz .LBB6_114
; %bb.150:                              ;   in Loop: Header=BB6_115 Depth=2
	v_or_b32_e32 v15, 0, v16
	global_store_b64 v[84:85], v[14:15], off
	s_branch .LBB6_114
.LBB6_151:                              ;   in Loop: Header=BB6_70 Depth=1
	s_or_b32 exec_lo, exec_lo, s20
.LBB6_152:                              ;   in Loop: Header=BB6_70 Depth=1
	s_delay_alu instid0(SALU_CYCLE_1)
	s_or_b32 exec_lo, exec_lo, s19
	s_and_saveexec_b32 s9, s5
	s_cbranch_execz .LBB6_174
; %bb.153:                              ;   in Loop: Header=BB6_70 Depth=1
	s_and_saveexec_b32 s10, s6
	s_delay_alu instid0(SALU_CYCLE_1)
	s_xor_b32 s10, exec_lo, s10
	s_cbranch_execz .LBB6_171
; %bb.154:                              ;   in Loop: Header=BB6_70 Depth=1
	s_and_saveexec_b32 s19, s7
	s_cbranch_execz .LBB6_170
; %bb.155:                              ;   in Loop: Header=BB6_70 Depth=1
	s_mov_b32 s21, exec_lo
	s_mov_b32 s20, exec_lo
	v_mbcnt_lo_u32_b32 v10, s21, 0
	s_waitcnt vmcnt(0) lgkmcnt(0)
	s_waitcnt_vscnt null, 0x0
	buffer_gl1_inv
	buffer_gl0_inv
	v_cmpx_eq_u32_e32 0, v10
	s_cbranch_execz .LBB6_157
; %bb.156:                              ;   in Loop: Header=BB6_70 Depth=1
	s_bcnt1_i32_b32 s21, s21
	s_delay_alu instid0(SALU_CYCLE_1)
	v_mov_b32_e32 v52, s21
	ds_add_u64 v0, v[52:53]
	s_cbranch_execnz .LBB6_431
.LBB6_157:                              ;   in Loop: Header=BB6_70 Depth=1
	s_or_b32 exec_lo, exec_lo, s20
	s_cbranch_execnz .LBB6_417
; %bb.158:                              ;   in Loop: Header=BB6_70 Depth=1
	ds_load_b64 v[10:11], v0
	v_add_co_u32 v50, vcc_lo, v50, v99
	v_add_co_ci_u32_e32 v51, vcc_lo, v51, v101, vcc_lo
	s_mov_b32 s20, exec_lo
	s_waitcnt lgkmcnt(0)
	s_delay_alu instid0(VALU_DEP_1)
	v_cmpx_lt_u64_e64 v[10:11], v[50:51]
	s_cbranch_execz .LBB6_169
; %bb.159:                              ;   in Loop: Header=BB6_70 Depth=1
	s_mov_b32 s21, 0
	s_mov_b32 s24, 0
                                        ; implicit-def: $sgpr22
                                        ; implicit-def: $sgpr23
	s_branch .LBB6_161
.LBB6_160:                              ;   in Loop: Header=BB6_161 Depth=2
	s_or_b32 exec_lo, exec_lo, s27
	s_delay_alu instid0(SALU_CYCLE_1) | instskip(NEXT) | instid1(SALU_CYCLE_1)
	s_and_b32 s25, exec_lo, s26
	s_or_b32 s21, s25, s21
	s_and_not1_b32 s22, s22, exec_lo
	s_and_b32 s25, s23, exec_lo
	s_delay_alu instid0(SALU_CYCLE_1)
	s_or_b32 s22, s22, s25
	s_and_not1_b32 exec_lo, exec_lo, s21
	s_cbranch_execz .LBB6_167
.LBB6_161:                              ;   Parent Loop BB6_70 Depth=1
                                        ; =>  This Inner Loop Header: Depth=2
	s_add_i32 s24, s24, 1
                                        ; implicit-def: $sgpr26
	s_delay_alu instid0(SALU_CYCLE_1) | instskip(SKIP_1) | instid1(SALU_CYCLE_1)
	s_cmpk_lg_i32 s24, 0x2710
	s_cselect_b32 s25, -1, 0
	s_and_b32 vcc_lo, exec_lo, s25
	s_cbranch_vccz .LBB6_165
.LBB6_162:                              ;   in Loop: Header=BB6_161 Depth=2
	s_and_not1_b32 s23, s23, exec_lo
	s_and_b32 s27, s26, exec_lo
	s_mov_b32 s26, -1
	s_or_b32 s23, s23, s27
	s_and_saveexec_b32 s27, s25
	s_cbranch_execz .LBB6_160
; %bb.163:                              ;   in Loop: Header=BB6_161 Depth=2
	s_sleep 1
	s_cbranch_execnz .LBB6_447
; %bb.164:                              ;   in Loop: Header=BB6_161 Depth=2
	ds_load_b64 v[10:11], v0
	s_and_not1_b32 s23, s23, exec_lo
	s_waitcnt lgkmcnt(0)
	v_cmp_ge_u64_e32 vcc_lo, v[10:11], v[50:51]
	s_or_not1_b32 s26, vcc_lo, exec_lo
	s_branch .LBB6_160
.LBB6_165:                              ;   in Loop: Header=BB6_161 Depth=2
	s_cbranch_execnz .LBB6_451
; %bb.166:                              ;   in Loop: Header=BB6_161 Depth=2
	ds_load_b64 v[10:11], v0
	s_and_not1_b32 s25, s25, exec_lo
	s_mov_b32 s24, 0
	s_mov_b32 s26, -1
	s_waitcnt lgkmcnt(0)
	flat_load_b32 v10, v[10:11] glc
	s_waitcnt vmcnt(0) lgkmcnt(0)
	buffer_gl1_inv
	buffer_gl0_inv
	v_cmp_eq_u32_e32 vcc_lo, 0, v10
	s_and_b32 s27, vcc_lo, exec_lo
	s_delay_alu instid0(SALU_CYCLE_1)
	s_or_b32 s25, s25, s27
	s_branch .LBB6_162
.LBB6_167:                              ;   in Loop: Header=BB6_70 Depth=1
	s_or_b32 exec_lo, exec_lo, s21
	s_and_saveexec_b32 s21, s22
	s_delay_alu instid0(SALU_CYCLE_1)
	s_xor_b32 s21, exec_lo, s21
	s_cbranch_execz .LBB6_169
; %bb.168:                              ;   in Loop: Header=BB6_70 Depth=1
	ds_store_b32 v0, v118
	s_cbranch_execnz .LBB6_471
.LBB6_169:                              ;   in Loop: Header=BB6_70 Depth=1
	s_or_b32 exec_lo, exec_lo, s20
	;;#ASMSTART
	s_wakeup
	;;#ASMEND
.LBB6_170:                              ;   in Loop: Header=BB6_70 Depth=1
	s_or_b32 exec_lo, exec_lo, s19
.LBB6_171:                              ;   in Loop: Header=BB6_70 Depth=1
	s_and_not1_saveexec_b32 s10, s10
	s_cbranch_execz .LBB6_173
; %bb.172:                              ;   in Loop: Header=BB6_70 Depth=1
	s_waitcnt vmcnt(0) lgkmcnt(0)
	s_waitcnt_vscnt null, 0x0
	buffer_gl1_inv
	buffer_gl0_inv
	s_barrier
.LBB6_173:                              ;   in Loop: Header=BB6_70 Depth=1
	s_or_b32 exec_lo, exec_lo, s10
.LBB6_174:                              ;   in Loop: Header=BB6_70 Depth=1
	s_delay_alu instid0(SALU_CYCLE_1)
	s_or_b32 exec_lo, exec_lo, s9
	s_and_saveexec_b32 s9, s8
	s_cbranch_execz .LBB6_176
; %bb.175:                              ;   in Loop: Header=BB6_70 Depth=1
	v_add_co_u32 v36, vcc_lo, v36, 1
	v_add_co_ci_u32_e32 v37, vcc_lo, 0, v37, vcc_lo
	s_waitcnt vmcnt(0) lgkmcnt(0)
	s_waitcnt_vscnt null, 0x0
	flat_store_b64 v[28:29], v[36:37]
.LBB6_176:                              ;   in Loop: Header=BB6_70 Depth=1
	s_or_b32 exec_lo, exec_lo, s9
	v_and_b32_e32 v52, 0x7ffffff8, v34
	v_cmp_gt_i32_e64 s9, s14, v82
	s_delay_alu instid0(VALU_DEP_2) | instskip(NEXT) | instid1(VALU_DEP_2)
	v_cmp_eq_u64_e32 vcc_lo, 0x7ffffff8, v[52:53]
	s_and_b32 s9, vcc_lo, s9
	s_delay_alu instid0(SALU_CYCLE_1)
	s_and_saveexec_b32 s10, s9
	s_cbranch_execz .LBB6_179
; %bb.177:                              ;   in Loop: Header=BB6_70 Depth=1
	v_and_b32_e32 v10, 7, v34
	v_ashrrev_i32_e32 v83, 31, v82
	v_mov_b32_e32 v14, v34
	s_mov_b32 s19, 0
	s_delay_alu instid0(VALU_DEP_3) | instskip(NEXT) | instid1(VALU_DEP_3)
	v_mul_lo_u32 v10, v10, s14
	v_lshlrev_b64 v[12:13], 4, v[82:83]
	s_delay_alu instid0(VALU_DEP_2) | instskip(NEXT) | instid1(VALU_DEP_1)
	v_ashrrev_i32_e32 v11, 31, v10
	v_lshlrev_b64 v[10:11], 4, v[10:11]
	s_delay_alu instid0(VALU_DEP_1) | instskip(NEXT) | instid1(VALU_DEP_2)
	v_add_co_u32 v12, vcc_lo, v12, v10
	v_add_co_ci_u32_e32 v13, vcc_lo, v13, v11, vcc_lo
	v_add_co_u32 v10, vcc_lo, 0, 0
	v_add_co_ci_u32_e32 v11, vcc_lo, 1, v14, vcc_lo
	s_delay_alu instid0(VALU_DEP_4) | instskip(NEXT) | instid1(VALU_DEP_4)
	v_add_co_u32 v14, vcc_lo, v32, v12
	v_add_co_ci_u32_e32 v15, vcc_lo, v33, v13, vcc_lo
.LBB6_178:                              ;   Parent Loop BB6_70 Depth=1
                                        ; =>  This Inner Loop Header: Depth=2
	s_delay_alu instid0(VALU_DEP_3) | instskip(SKIP_4) | instid1(VALU_DEP_1)
	v_dual_mov_b32 v12, v10 :: v_dual_mov_b32 v13, v11
	v_add_nc_u32_e32 v82, v82, v2
	global_store_b128 v[14:15], v[10:13], off
	v_cmp_le_i32_e32 vcc_lo, s14, v82
	v_add_co_u32 v14, s9, v14, v68
	v_add_co_ci_u32_e64 v15, s9, v15, v69, s9
	s_or_b32 s19, vcc_lo, s19
	s_delay_alu instid0(SALU_CYCLE_1)
	s_and_not1_b32 exec_lo, exec_lo, s19
	s_cbranch_execnz .LBB6_178
.LBB6_179:                              ;   in Loop: Header=BB6_70 Depth=1
	s_or_b32 exec_lo, exec_lo, s10
	v_add_co_u32 v24, vcc_lo, v24, 1
	v_add_co_ci_u32_e32 v25, vcc_lo, 0, v25, vcc_lo
	v_add_co_u32 v34, vcc_lo, v34, 1
	v_add_co_ci_u32_e32 v35, vcc_lo, 0, v35, vcc_lo
                                        ; implicit-def: $vgpr12
                                        ; implicit-def: $vgpr13
                                        ; implicit-def: $vgpr15
.LBB6_180:                              ;   in Loop: Header=BB6_70 Depth=1
	s_and_not1_saveexec_b32 s18, s18
	s_cbranch_execz .LBB6_242
; %bb.181:                              ;   in Loop: Header=BB6_70 Depth=1
	v_sub_nc_u32_e32 v52, v12, v100
	s_mov_b32 s19, exec_lo
	s_delay_alu instid0(VALU_DEP_1)
	v_cmpx_lt_i32_e32 0, v52
	s_cbranch_execz .LBB6_217
; %bb.182:                              ;   in Loop: Header=BB6_70 Depth=1
	v_and_b32_e32 v10, 7, v24
	v_add_co_u32 v14, vcc_lo, v112, v13
	v_add_co_ci_u32_e32 v15, vcc_lo, v113, v15, vcc_lo
	s_delay_alu instid0(VALU_DEP_3) | instskip(SKIP_3) | instid1(VALU_DEP_3)
	v_mul_lo_u32 v10, v10, s14
	v_add_nc_u32_e32 v86, 1, v24
	v_mov_b32_e32 v16, v0
	s_mov_b32 s20, 0
	v_ashrrev_i32_e32 v11, 31, v10
	s_delay_alu instid0(VALU_DEP_1) | instskip(NEXT) | instid1(VALU_DEP_1)
	v_lshlrev_b64 v[10:11], 4, v[10:11]
	v_add_co_u32 v87, vcc_lo, v22, v10
	s_delay_alu instid0(VALU_DEP_2)
	v_add_co_ci_u32_e32 v96, vcc_lo, v23, v11, vcc_lo
	s_branch .LBB6_184
.LBB6_183:                              ;   in Loop: Header=BB6_184 Depth=2
	v_sub_nc_u32_e32 v52, v52, v102
	v_add_co_u32 v14, s9, v14, v102
	s_delay_alu instid0(VALU_DEP_1) | instskip(NEXT) | instid1(VALU_DEP_3)
	v_add_co_ci_u32_e64 v15, s9, v15, v114, s9
	v_cmp_gt_i32_e32 vcc_lo, 1, v52
	v_add_nc_u32_e32 v16, v16, v2
	s_or_b32 s20, vcc_lo, s20
	s_delay_alu instid0(SALU_CYCLE_1)
	s_and_not1_b32 exec_lo, exec_lo, s20
	s_cbranch_execz .LBB6_216
.LBB6_184:                              ;   Parent Loop BB6_70 Depth=1
                                        ; =>  This Loop Header: Depth=2
                                        ;       Child Loop BB6_188 Depth 3
	s_delay_alu instid0(VALU_DEP_1) | instskip(NEXT) | instid1(VALU_DEP_1)
	v_ashrrev_i32_e32 v17, 31, v16
	v_lshlrev_b64 v[10:11], 4, v[16:17]
	s_delay_alu instid0(VALU_DEP_1) | instskip(NEXT) | instid1(VALU_DEP_2)
	v_add_co_u32 v84, vcc_lo, v87, v10
	v_add_co_ci_u32_e32 v85, vcc_lo, v96, v11, vcc_lo
	;;#ASMSTART
	global_load_b128 v[10:13], v[84:85], off glc slc dlc
s_waitcnt vmcnt(0)

	;;#ASMEND
	v_lshrrev_b64 v[82:83], 24, v[10:11]
	v_cmp_eq_u32_e32 vcc_lo, 0, v119
	v_lshrrev_b32_e32 v97, 8, v10
	v_lshrrev_b32_e32 v17, 16, v10
	s_and_saveexec_b32 s21, vcc_lo
	s_cbranch_execz .LBB6_198
; %bb.185:                              ;   in Loop: Header=BB6_184 Depth=2
	v_cmp_ne_u32_e64 s9, v86, v11
	v_cmp_ne_u32_e64 s10, v86, v13
	v_mov_b32_e32 v119, 0
	s_delay_alu instid0(VALU_DEP_2) | instskip(NEXT) | instid1(SALU_CYCLE_1)
	s_or_b32 s9, s9, s10
	s_and_saveexec_b32 s10, s9
	s_cbranch_execz .LBB6_197
; %bb.186:                              ;   in Loop: Header=BB6_184 Depth=2
	v_cndmask_b32_e64 v17, 0, 1, vcc_lo
	s_mov_b32 s23, 0
                                        ; implicit-def: $sgpr22
                                        ; implicit-def: $sgpr24
	s_branch .LBB6_188
.LBB6_187:                              ;   in Loop: Header=BB6_188 Depth=3
	s_or_b32 exec_lo, exec_lo, s25
	s_delay_alu instid0(SALU_CYCLE_1) | instskip(NEXT) | instid1(SALU_CYCLE_1)
	s_and_b32 s9, exec_lo, s9
	s_or_b32 s23, s9, s23
	s_and_not1_b32 s9, s22, exec_lo
	s_and_b32 s22, s24, exec_lo
	s_delay_alu instid0(SALU_CYCLE_1)
	s_or_b32 s22, s9, s22
	s_and_not1_b32 exec_lo, exec_lo, s23
	s_cbranch_execz .LBB6_196
.LBB6_188:                              ;   Parent Loop BB6_70 Depth=1
                                        ;     Parent Loop BB6_184 Depth=2
                                        ; =>    This Inner Loop Header: Depth=3
	s_delay_alu instid0(VALU_DEP_1)
	v_add_nc_u32_e32 v17, 1, v17
	v_mov_b32_e32 v119, 0
	s_mov_b32 s9, -1
	s_mov_b32 s26, -1
	s_mov_b32 s25, exec_lo
	;;#ASMSTART
	global_load_b128 v[10:13], v[84:85], off glc slc dlc
s_waitcnt vmcnt(0)

	;;#ASMEND
	v_cmpx_eq_u32_e32 0x2710, v17
	s_cbranch_execz .LBB6_194
; %bb.189:                              ;   in Loop: Header=BB6_188 Depth=3
	s_cbranch_execnz .LBB6_369
; %bb.190:                              ;   in Loop: Header=BB6_188 Depth=3
	ds_load_b64 v[82:83], v0
	v_mov_b32_e32 v17, 0
	v_mov_b32_e32 v119, 0
	s_mov_b32 s27, -1
	s_mov_b32 s26, exec_lo
	s_waitcnt vmcnt(0) lgkmcnt(0)
	s_waitcnt_vscnt null, 0x0
	flat_load_b32 v82, v[82:83] glc
	s_waitcnt vmcnt(0) lgkmcnt(0)
	buffer_gl1_inv
	buffer_gl0_inv
	v_cmpx_ne_u32_e32 0, v82
	s_cbranch_execz .LBB6_193
; %bb.191:                              ;   in Loop: Header=BB6_188 Depth=3
	ds_store_b32 v0, v82
	s_cbranch_execnz .LBB6_392
; %bb.192:                              ;   in Loop: Header=BB6_188 Depth=3
	v_mov_b32_e32 v119, 1
	s_xor_b32 s27, exec_lo, -1
.LBB6_193:                              ;   in Loop: Header=BB6_188 Depth=3
	s_or_b32 exec_lo, exec_lo, s26
	s_delay_alu instid0(SALU_CYCLE_1)
	s_or_not1_b32 s26, s27, exec_lo
.LBB6_194:                              ;   in Loop: Header=BB6_188 Depth=3
	s_or_b32 exec_lo, exec_lo, s25
	s_delay_alu instid0(SALU_CYCLE_1)
	s_or_b32 s24, s24, exec_lo
	s_and_saveexec_b32 s25, s26
	s_cbranch_execz .LBB6_187
; %bb.195:                              ;   in Loop: Header=BB6_188 Depth=3
	v_cmp_eq_u32_e32 vcc_lo, v86, v11
	v_cmp_eq_u32_e64 s9, v86, v13
	s_and_not1_b32 s24, s24, exec_lo
	s_delay_alu instid0(VALU_DEP_1) | instskip(NEXT) | instid1(SALU_CYCLE_1)
	s_and_b32 s9, vcc_lo, s9
	s_or_not1_b32 s9, s9, exec_lo
	s_branch .LBB6_187
.LBB6_196:                              ;   in Loop: Header=BB6_184 Depth=2
	s_or_b32 exec_lo, exec_lo, s23
	v_lshrrev_b64 v[82:83], 24, v[10:11]
	v_lshrrev_b32_e32 v97, 8, v10
	v_lshrrev_b32_e32 v17, 16, v10
	s_xor_b32 s9, s22, -1
	s_delay_alu instid0(SALU_CYCLE_1) | instskip(NEXT) | instid1(SALU_CYCLE_1)
	s_and_saveexec_b32 s22, s9
	s_xor_b32 s9, exec_lo, s22
	s_delay_alu instid0(SALU_CYCLE_1) | instskip(NEXT) | instid1(SALU_CYCLE_1)
	s_and_not1_saveexec_b32 s9, s9
	s_or_b32 exec_lo, exec_lo, s9
.LBB6_197:                              ;   in Loop: Header=BB6_184 Depth=2
	s_delay_alu instid0(SALU_CYCLE_1)
	s_or_b32 exec_lo, exec_lo, s10
.LBB6_198:                              ;   in Loop: Header=BB6_184 Depth=2
	s_delay_alu instid0(SALU_CYCLE_1) | instskip(SKIP_3) | instid1(VALU_DEP_1)
	s_or_b32 exec_lo, exec_lo, s21
	v_cmp_lt_u32_e32 vcc_lo, 7, v52
	v_cndmask_b32_e64 v11, 0, 1, vcc_lo
	;;#ASMSTART
	;;#ASMEND
	v_cmp_ne_u32_e64 s9, 0, v11
	s_delay_alu instid0(VALU_DEP_1)
	s_cmp_lg_u32 s9, exec_lo
	s_mov_b32 s9, -1
	s_cbranch_scc0 .LBB6_214
; %bb.199:                              ;   in Loop: Header=BB6_184 Depth=2
	s_mov_b32 s10, exec_lo
	flat_store_b8 v[14:15], v10
	v_cmpx_ne_u32_e32 1, v52
	s_cbranch_execz .LBB6_201
; %bb.200:                              ;   in Loop: Header=BB6_184 Depth=2
	flat_store_b8 v[14:15], v97 offset:1
.LBB6_201:                              ;   in Loop: Header=BB6_184 Depth=2
	s_or_b32 exec_lo, exec_lo, s10
	s_delay_alu instid0(SALU_CYCLE_1)
	s_mov_b32 s10, exec_lo
	v_cmpx_lt_u32_e32 2, v52
	s_cbranch_execz .LBB6_203
; %bb.202:                              ;   in Loop: Header=BB6_184 Depth=2
	flat_store_b8 v[14:15], v17 offset:2
.LBB6_203:                              ;   in Loop: Header=BB6_184 Depth=2
	s_or_b32 exec_lo, exec_lo, s10
	s_delay_alu instid0(SALU_CYCLE_1)
	s_mov_b32 s10, exec_lo
	v_cmpx_lt_u32_e32 3, v52
	;; [unrolled: 8-line block ×4, first 2 shown]
	s_cbranch_execz .LBB6_209
; %bb.208:                              ;   in Loop: Header=BB6_184 Depth=2
	v_lshrrev_b32_e32 v11, 8, v12
	flat_store_b8 v[14:15], v11 offset:5
.LBB6_209:                              ;   in Loop: Header=BB6_184 Depth=2
	s_or_b32 exec_lo, exec_lo, s10
	s_delay_alu instid0(SALU_CYCLE_1)
	s_mov_b32 s10, exec_lo
	v_cmpx_lt_u32_e32 6, v52
	s_cbranch_execz .LBB6_211
; %bb.210:                              ;   in Loop: Header=BB6_184 Depth=2
	flat_store_d16_hi_b8 v[14:15], v12 offset:6
.LBB6_211:                              ;   in Loop: Header=BB6_184 Depth=2
	s_or_b32 exec_lo, exec_lo, s10
	s_and_saveexec_b32 s9, vcc_lo
	s_cbranch_execz .LBB6_213
; %bb.212:                              ;   in Loop: Header=BB6_184 Depth=2
	v_lshrrev_b32_e32 v11, 24, v12
	flat_store_b8 v[14:15], v11 offset:7
.LBB6_213:                              ;   in Loop: Header=BB6_184 Depth=2
	s_or_b32 exec_lo, exec_lo, s9
	s_mov_b32 s9, 0
.LBB6_214:                              ;   in Loop: Header=BB6_184 Depth=2
	s_delay_alu instid0(SALU_CYCLE_1)
	s_and_b32 vcc_lo, exec_lo, s9
	s_cbranch_vccz .LBB6_183
; %bb.215:                              ;   in Loop: Header=BB6_184 Depth=2
	v_mov_b32_e32 v11, v12
	global_store_b64 v[14:15], v[10:11], off
	s_branch .LBB6_183
.LBB6_216:                              ;   in Loop: Header=BB6_70 Depth=1
	s_or_b32 exec_lo, exec_lo, s20
.LBB6_217:                              ;   in Loop: Header=BB6_70 Depth=1
	s_delay_alu instid0(SALU_CYCLE_1)
	s_or_b32 exec_lo, exec_lo, s19
	s_and_saveexec_b32 s9, s5
	s_cbranch_execz .LBB6_239
; %bb.218:                              ;   in Loop: Header=BB6_70 Depth=1
	s_and_saveexec_b32 s10, s6
	s_delay_alu instid0(SALU_CYCLE_1)
	s_xor_b32 s10, exec_lo, s10
	s_cbranch_execz .LBB6_236
; %bb.219:                              ;   in Loop: Header=BB6_70 Depth=1
	s_and_saveexec_b32 s19, s7
	s_cbranch_execz .LBB6_235
; %bb.220:                              ;   in Loop: Header=BB6_70 Depth=1
	s_mov_b32 s21, exec_lo
	s_mov_b32 s20, exec_lo
	v_mbcnt_lo_u32_b32 v10, s21, 0
	s_waitcnt vmcnt(0) lgkmcnt(0)
	s_waitcnt_vscnt null, 0x0
	buffer_gl1_inv
	buffer_gl0_inv
	v_cmpx_eq_u32_e32 0, v10
	s_cbranch_execz .LBB6_222
; %bb.221:                              ;   in Loop: Header=BB6_70 Depth=1
	s_bcnt1_i32_b32 s21, s21
	s_delay_alu instid0(SALU_CYCLE_1)
	v_mov_b32_e32 v52, s21
	ds_add_u64 v0, v[52:53]
	s_cbranch_execnz .LBB6_433
.LBB6_222:                              ;   in Loop: Header=BB6_70 Depth=1
	s_or_b32 exec_lo, exec_lo, s20
	s_cbranch_execnz .LBB6_421
; %bb.223:                              ;   in Loop: Header=BB6_70 Depth=1
	ds_load_b64 v[10:11], v0
	v_add_co_u32 v50, vcc_lo, v50, v99
	v_add_co_ci_u32_e32 v51, vcc_lo, v51, v101, vcc_lo
	s_mov_b32 s20, exec_lo
	s_waitcnt lgkmcnt(0)
	s_delay_alu instid0(VALU_DEP_1)
	v_cmpx_lt_u64_e64 v[10:11], v[50:51]
	s_cbranch_execz .LBB6_234
; %bb.224:                              ;   in Loop: Header=BB6_70 Depth=1
	s_mov_b32 s21, 0
	s_mov_b32 s24, 0
                                        ; implicit-def: $sgpr22
                                        ; implicit-def: $sgpr23
	s_branch .LBB6_226
.LBB6_225:                              ;   in Loop: Header=BB6_226 Depth=2
	s_or_b32 exec_lo, exec_lo, s27
	s_delay_alu instid0(SALU_CYCLE_1) | instskip(NEXT) | instid1(SALU_CYCLE_1)
	s_and_b32 s25, exec_lo, s26
	s_or_b32 s21, s25, s21
	s_and_not1_b32 s22, s22, exec_lo
	s_and_b32 s25, s23, exec_lo
	s_delay_alu instid0(SALU_CYCLE_1)
	s_or_b32 s22, s22, s25
	s_and_not1_b32 exec_lo, exec_lo, s21
	s_cbranch_execz .LBB6_232
.LBB6_226:                              ;   Parent Loop BB6_70 Depth=1
                                        ; =>  This Inner Loop Header: Depth=2
	s_add_i32 s24, s24, 1
                                        ; implicit-def: $sgpr26
	s_delay_alu instid0(SALU_CYCLE_1) | instskip(SKIP_1) | instid1(SALU_CYCLE_1)
	s_cmpk_lg_i32 s24, 0x2710
	s_cselect_b32 s25, -1, 0
	s_and_b32 vcc_lo, exec_lo, s25
	s_cbranch_vccz .LBB6_230
.LBB6_227:                              ;   in Loop: Header=BB6_226 Depth=2
	s_and_not1_b32 s23, s23, exec_lo
	s_and_b32 s27, s26, exec_lo
	s_mov_b32 s26, -1
	s_or_b32 s23, s23, s27
	s_and_saveexec_b32 s27, s25
	s_cbranch_execz .LBB6_225
; %bb.228:                              ;   in Loop: Header=BB6_226 Depth=2
	s_sleep 1
	s_cbranch_execnz .LBB6_449
; %bb.229:                              ;   in Loop: Header=BB6_226 Depth=2
	ds_load_b64 v[10:11], v0
	s_and_not1_b32 s23, s23, exec_lo
	s_waitcnt lgkmcnt(0)
	v_cmp_ge_u64_e32 vcc_lo, v[10:11], v[50:51]
	s_or_not1_b32 s26, vcc_lo, exec_lo
	s_branch .LBB6_225
.LBB6_230:                              ;   in Loop: Header=BB6_226 Depth=2
	s_cbranch_execnz .LBB6_453
; %bb.231:                              ;   in Loop: Header=BB6_226 Depth=2
	ds_load_b64 v[10:11], v0
	s_and_not1_b32 s25, s25, exec_lo
	s_mov_b32 s24, 0
	s_mov_b32 s26, -1
	s_waitcnt lgkmcnt(0)
	flat_load_b32 v10, v[10:11] glc
	s_waitcnt vmcnt(0) lgkmcnt(0)
	buffer_gl1_inv
	buffer_gl0_inv
	v_cmp_eq_u32_e32 vcc_lo, 0, v10
	s_and_b32 s27, vcc_lo, exec_lo
	s_delay_alu instid0(SALU_CYCLE_1)
	s_or_b32 s25, s25, s27
	s_branch .LBB6_227
.LBB6_232:                              ;   in Loop: Header=BB6_70 Depth=1
	s_or_b32 exec_lo, exec_lo, s21
	s_and_saveexec_b32 s21, s22
	s_delay_alu instid0(SALU_CYCLE_1)
	s_xor_b32 s21, exec_lo, s21
	s_cbranch_execz .LBB6_234
; %bb.233:                              ;   in Loop: Header=BB6_70 Depth=1
	ds_store_b32 v0, v118
	s_cbranch_execnz .LBB6_473
.LBB6_234:                              ;   in Loop: Header=BB6_70 Depth=1
	s_or_b32 exec_lo, exec_lo, s20
	;;#ASMSTART
	s_wakeup
	;;#ASMEND
.LBB6_235:                              ;   in Loop: Header=BB6_70 Depth=1
	s_or_b32 exec_lo, exec_lo, s19
.LBB6_236:                              ;   in Loop: Header=BB6_70 Depth=1
	s_and_not1_saveexec_b32 s10, s10
	s_cbranch_execz .LBB6_238
; %bb.237:                              ;   in Loop: Header=BB6_70 Depth=1
	s_waitcnt vmcnt(0) lgkmcnt(0)
	s_waitcnt_vscnt null, 0x0
	buffer_gl1_inv
	buffer_gl0_inv
	s_barrier
.LBB6_238:                              ;   in Loop: Header=BB6_70 Depth=1
	s_or_b32 exec_lo, exec_lo, s10
.LBB6_239:                              ;   in Loop: Header=BB6_70 Depth=1
	s_delay_alu instid0(SALU_CYCLE_1)
	s_or_b32 exec_lo, exec_lo, s9
	s_and_saveexec_b32 s9, s8
	s_cbranch_execz .LBB6_241
; %bb.240:                              ;   in Loop: Header=BB6_70 Depth=1
	v_add_co_u32 v36, vcc_lo, v36, 1
	v_add_co_ci_u32_e32 v37, vcc_lo, 0, v37, vcc_lo
	s_waitcnt vmcnt(0) lgkmcnt(0)
	s_waitcnt_vscnt null, 0x0
	flat_store_b64 v[28:29], v[36:37]
.LBB6_241:                              ;   in Loop: Header=BB6_70 Depth=1
	s_or_b32 exec_lo, exec_lo, s9
	v_add_co_u32 v24, vcc_lo, v24, 1
	v_add_co_ci_u32_e32 v25, vcc_lo, 0, v25, vcc_lo
.LBB6_242:                              ;   in Loop: Header=BB6_70 Depth=1
	s_or_b32 exec_lo, exec_lo, s18
                                        ; implicit-def: $vgpr12
.LBB6_243:                              ;   in Loop: Header=BB6_70 Depth=1
	s_and_not1_saveexec_b32 s17, s17
	s_cbranch_execz .LBB6_69
; %bb.244:                              ;   in Loop: Header=BB6_70 Depth=1
	v_add_nc_u32_e32 v10, 7, v12
	s_delay_alu instid0(VALU_DEP_1) | instskip(NEXT) | instid1(VALU_DEP_1)
	v_ashrrev_i32_e32 v11, 31, v10
	v_lshrrev_b32_e32 v11, 29, v11
	s_delay_alu instid0(VALU_DEP_1) | instskip(NEXT) | instid1(VALU_DEP_1)
	v_add_nc_u32_e32 v10, v10, v11
	v_ashrrev_i32_e32 v13, 3, v10
	s_and_saveexec_b32 s9, s16
	s_delay_alu instid0(SALU_CYCLE_1)
	s_xor_b32 s18, exec_lo, s9
	s_cbranch_execz .LBB6_315
; %bb.245:                              ;   in Loop: Header=BB6_70 Depth=1
	s_and_saveexec_b32 s9, s3
	s_cbranch_execz .LBB6_263
; %bb.246:                              ;   in Loop: Header=BB6_70 Depth=1
	v_add_co_u32 v10, vcc_lo, v8, 1
	v_add_co_ci_u32_e32 v11, vcc_lo, 0, v9, vcc_lo
	s_waitcnt vmcnt(0) lgkmcnt(0)
	v_add_co_u32 v14, vcc_lo, v48, 8
	v_add_co_ci_u32_e32 v15, vcc_lo, 0, v49, vcc_lo
	s_mov_b32 s10, exec_lo
	s_delay_alu instid0(VALU_DEP_1)
	v_cmpx_lt_u64_e64 v[14:15], v[10:11]
	s_cbranch_execz .LBB6_260
; %bb.247:                              ;   in Loop: Header=BB6_70 Depth=1
	s_sleep 1
	flat_load_b64 v[48:49], v[38:39] glc
	v_cmp_eq_u32_e32 vcc_lo, 0, v119
	s_and_saveexec_b32 s19, vcc_lo
	s_cbranch_execz .LBB6_259
; %bb.248:                              ;   in Loop: Header=BB6_70 Depth=1
	v_cndmask_b32_e64 v9, 0, 1, vcc_lo
	s_mov_b32 s20, 0
                                        ; implicit-def: $sgpr21
	s_branch .LBB6_252
.LBB6_249:                              ;   in Loop: Header=BB6_252 Depth=2
	s_or_b32 exec_lo, exec_lo, s24
	s_delay_alu instid0(SALU_CYCLE_1)
	s_or_not1_b32 s24, s25, exec_lo
.LBB6_250:                              ;   in Loop: Header=BB6_252 Depth=2
	s_or_b32 exec_lo, exec_lo, s23
	s_xor_b32 s23, s24, -1
	s_and_not1_b32 s21, s21, exec_lo
	s_and_b32 s23, s23, exec_lo
	s_delay_alu instid0(SALU_CYCLE_1)
	s_or_b32 s21, s21, s23
.LBB6_251:                              ;   in Loop: Header=BB6_252 Depth=2
	s_or_b32 exec_lo, exec_lo, s22
	s_delay_alu instid0(SALU_CYCLE_1) | instskip(NEXT) | instid1(SALU_CYCLE_1)
	s_and_b32 s22, exec_lo, s21
	s_or_b32 s20, s22, s20
	s_delay_alu instid0(SALU_CYCLE_1)
	s_and_not1_b32 exec_lo, exec_lo, s20
	s_cbranch_execz .LBB6_258
.LBB6_252:                              ;   Parent Loop BB6_70 Depth=1
                                        ; =>  This Inner Loop Header: Depth=2
	s_waitcnt vmcnt(0) lgkmcnt(0)
	v_add_co_u32 v14, vcc_lo, v48, 8
	v_add_co_ci_u32_e32 v15, vcc_lo, 0, v49, vcc_lo
	v_mov_b32_e32 v119, 0
	s_or_b32 s21, s21, exec_lo
	s_mov_b32 s22, exec_lo
	s_delay_alu instid0(VALU_DEP_2)
	v_cmpx_lt_u64_e64 v[14:15], v[10:11]
	s_cbranch_execz .LBB6_251
; %bb.253:                              ;   in Loop: Header=BB6_252 Depth=2
	s_sleep 1
	flat_load_b64 v[48:49], v[38:39] glc
	v_add_nc_u32_e32 v9, 1, v9
	v_mov_b32_e32 v119, 0
	s_mov_b32 s24, -1
	s_mov_b32 s23, exec_lo
	s_delay_alu instid0(VALU_DEP_2)
	v_cmpx_eq_u32_e32 0x2710, v9
	s_cbranch_execz .LBB6_250
; %bb.254:                              ;   in Loop: Header=BB6_252 Depth=2
	s_cbranch_execnz .LBB6_390
; %bb.255:                              ;   in Loop: Header=BB6_252 Depth=2
	ds_load_b64 v[14:15], v0
	v_mov_b32_e32 v9, 0
	v_mov_b32_e32 v119, 0
	s_mov_b32 s25, -1
	s_mov_b32 s24, exec_lo
	s_waitcnt vmcnt(0) lgkmcnt(0)
	s_waitcnt_vscnt null, 0x0
	flat_load_b32 v14, v[14:15] glc
	s_waitcnt vmcnt(0) lgkmcnt(0)
	buffer_gl1_inv
	buffer_gl0_inv
	v_cmpx_ne_u32_e32 0, v14
	s_cbranch_execz .LBB6_249
; %bb.256:                              ;   in Loop: Header=BB6_252 Depth=2
	ds_store_b32 v0, v14
	s_cbranch_execnz .LBB6_425
; %bb.257:                              ;   in Loop: Header=BB6_252 Depth=2
	v_mov_b32_e32 v119, 1
	s_xor_b32 s25, exec_lo, -1
	s_branch .LBB6_249
.LBB6_258:                              ;   in Loop: Header=BB6_70 Depth=1
	s_or_b32 exec_lo, exec_lo, s20
.LBB6_259:                              ;   in Loop: Header=BB6_70 Depth=1
	s_delay_alu instid0(SALU_CYCLE_1)
	s_or_b32 exec_lo, exec_lo, s19
.LBB6_260:                              ;   in Loop: Header=BB6_70 Depth=1
	s_delay_alu instid0(SALU_CYCLE_1)
	s_or_b32 exec_lo, exec_lo, s10
	s_and_saveexec_b32 s10, s4
	s_cbranch_execz .LBB6_262
; %bb.261:                              ;   in Loop: Header=BB6_70 Depth=1
	v_and_b32_e32 v52, 0x7ffffff8, v8
	v_and_b32_e32 v15, 7, v8
	s_delay_alu instid0(VALU_DEP_2) | instskip(SKIP_1) | instid1(VALU_DEP_3)
	v_cmp_eq_u64_e32 vcc_lo, 0x7ffffff8, v[52:53]
	v_cndmask_b32_e64 v9, v13, s14, vcc_lo
	v_mad_u64_u32 v[13:14], null, v15, 24, v[6:7]
	s_delay_alu instid0(VALU_DEP_2) | instskip(NEXT) | instid1(VALU_DEP_1)
	v_lshlrev_b32_e32 v8, 4, v9
	v_ashrrev_i32_e32 v9, 31, v8
	flat_store_b64 v[13:14], v[8:9] offset:8 dlc
	s_waitcnt_vscnt null, 0x0
.LBB6_262:                              ;   in Loop: Header=BB6_70 Depth=1
	s_or_b32 exec_lo, exec_lo, s10
	v_dual_mov_b32 v8, v10 :: v_dual_mov_b32 v9, v11
.LBB6_263:                              ;   in Loop: Header=BB6_70 Depth=1
	s_or_b32 exec_lo, exec_lo, s9
	s_and_saveexec_b32 s9, s5
	s_cbranch_execz .LBB6_285
; %bb.264:                              ;   in Loop: Header=BB6_70 Depth=1
	s_and_saveexec_b32 s10, s6
	s_delay_alu instid0(SALU_CYCLE_1)
	s_xor_b32 s10, exec_lo, s10
	s_cbranch_execz .LBB6_282
; %bb.265:                              ;   in Loop: Header=BB6_70 Depth=1
	s_and_saveexec_b32 s19, s7
	s_cbranch_execz .LBB6_281
; %bb.266:                              ;   in Loop: Header=BB6_70 Depth=1
	s_mov_b32 s21, exec_lo
	s_mov_b32 s20, exec_lo
	v_mbcnt_lo_u32_b32 v10, s21, 0
	s_waitcnt vmcnt(0) lgkmcnt(0)
	s_waitcnt_vscnt null, 0x0
	buffer_gl1_inv
	buffer_gl0_inv
	v_cmpx_eq_u32_e32 0, v10
	s_cbranch_execz .LBB6_268
; %bb.267:                              ;   in Loop: Header=BB6_70 Depth=1
	s_bcnt1_i32_b32 s21, s21
	s_delay_alu instid0(SALU_CYCLE_1)
	v_mov_b32_e32 v52, s21
	ds_add_u64 v0, v[52:53]
	s_cbranch_execnz .LBB6_415
.LBB6_268:                              ;   in Loop: Header=BB6_70 Depth=1
	s_or_b32 exec_lo, exec_lo, s20
	s_cbranch_execnz .LBB6_407
; %bb.269:                              ;   in Loop: Header=BB6_70 Depth=1
	ds_load_b64 v[10:11], v0
	v_add_co_u32 v50, vcc_lo, v50, v99
	v_add_co_ci_u32_e32 v51, vcc_lo, v51, v101, vcc_lo
	s_mov_b32 s20, exec_lo
	s_waitcnt lgkmcnt(0)
	s_delay_alu instid0(VALU_DEP_1)
	v_cmpx_lt_u64_e64 v[10:11], v[50:51]
	s_cbranch_execz .LBB6_280
; %bb.270:                              ;   in Loop: Header=BB6_70 Depth=1
	s_mov_b32 s21, 0
	s_mov_b32 s24, 0
                                        ; implicit-def: $sgpr22
                                        ; implicit-def: $sgpr23
	s_branch .LBB6_272
.LBB6_271:                              ;   in Loop: Header=BB6_272 Depth=2
	s_or_b32 exec_lo, exec_lo, s27
	s_delay_alu instid0(SALU_CYCLE_1) | instskip(NEXT) | instid1(SALU_CYCLE_1)
	s_and_b32 s25, exec_lo, s26
	s_or_b32 s21, s25, s21
	s_and_not1_b32 s22, s22, exec_lo
	s_and_b32 s25, s23, exec_lo
	s_delay_alu instid0(SALU_CYCLE_1)
	s_or_b32 s22, s22, s25
	s_and_not1_b32 exec_lo, exec_lo, s21
	s_cbranch_execz .LBB6_278
.LBB6_272:                              ;   Parent Loop BB6_70 Depth=1
                                        ; =>  This Inner Loop Header: Depth=2
	s_add_i32 s24, s24, 1
                                        ; implicit-def: $sgpr26
	s_delay_alu instid0(SALU_CYCLE_1) | instskip(SKIP_1) | instid1(SALU_CYCLE_1)
	s_cmpk_lg_i32 s24, 0x2710
	s_cselect_b32 s25, -1, 0
	s_and_b32 vcc_lo, exec_lo, s25
	s_cbranch_vccz .LBB6_276
.LBB6_273:                              ;   in Loop: Header=BB6_272 Depth=2
	s_and_not1_b32 s23, s23, exec_lo
	s_and_b32 s27, s26, exec_lo
	s_mov_b32 s26, -1
	s_or_b32 s23, s23, s27
	s_and_saveexec_b32 s27, s25
	s_cbranch_execz .LBB6_271
; %bb.274:                              ;   in Loop: Header=BB6_272 Depth=2
	s_sleep 1
	s_cbranch_execnz .LBB6_439
; %bb.275:                              ;   in Loop: Header=BB6_272 Depth=2
	ds_load_b64 v[10:11], v0
	s_and_not1_b32 s23, s23, exec_lo
	s_waitcnt lgkmcnt(0)
	v_cmp_ge_u64_e32 vcc_lo, v[10:11], v[50:51]
	s_or_not1_b32 s26, vcc_lo, exec_lo
	s_branch .LBB6_271
.LBB6_276:                              ;   in Loop: Header=BB6_272 Depth=2
	s_cbranch_execnz .LBB6_443
; %bb.277:                              ;   in Loop: Header=BB6_272 Depth=2
	ds_load_b64 v[10:11], v0
	s_and_not1_b32 s25, s25, exec_lo
	s_mov_b32 s24, 0
	s_mov_b32 s26, -1
	s_waitcnt lgkmcnt(0)
	flat_load_b32 v10, v[10:11] glc
	s_waitcnt vmcnt(0) lgkmcnt(0)
	buffer_gl1_inv
	buffer_gl0_inv
	v_cmp_eq_u32_e32 vcc_lo, 0, v10
	s_and_b32 s27, vcc_lo, exec_lo
	s_delay_alu instid0(SALU_CYCLE_1)
	s_or_b32 s25, s25, s27
	s_branch .LBB6_273
.LBB6_278:                              ;   in Loop: Header=BB6_70 Depth=1
	s_or_b32 exec_lo, exec_lo, s21
	s_and_saveexec_b32 s21, s22
	s_delay_alu instid0(SALU_CYCLE_1)
	s_xor_b32 s21, exec_lo, s21
	s_cbranch_execz .LBB6_280
; %bb.279:                              ;   in Loop: Header=BB6_70 Depth=1
	ds_store_b32 v0, v118
	s_cbranch_execnz .LBB6_467
.LBB6_280:                              ;   in Loop: Header=BB6_70 Depth=1
	s_or_b32 exec_lo, exec_lo, s20
	;;#ASMSTART
	s_wakeup
	;;#ASMEND
.LBB6_281:                              ;   in Loop: Header=BB6_70 Depth=1
	s_or_b32 exec_lo, exec_lo, s19
.LBB6_282:                              ;   in Loop: Header=BB6_70 Depth=1
	s_and_not1_saveexec_b32 s10, s10
	s_cbranch_execz .LBB6_284
; %bb.283:                              ;   in Loop: Header=BB6_70 Depth=1
	s_waitcnt vmcnt(0) lgkmcnt(0)
	s_waitcnt_vscnt null, 0x0
	buffer_gl1_inv
	buffer_gl0_inv
	s_barrier
.LBB6_284:                              ;   in Loop: Header=BB6_70 Depth=1
	s_or_b32 exec_lo, exec_lo, s10
.LBB6_285:                              ;   in Loop: Header=BB6_70 Depth=1
	s_delay_alu instid0(SALU_CYCLE_1) | instskip(SKIP_3) | instid1(VALU_DEP_2)
	s_or_b32 exec_lo, exec_lo, s9
	v_sub_nc_u32_e32 v17, v12, v100
	v_mov_b32_e32 v14, v0
	s_mov_b32 s19, exec_lo
	v_cmpx_lt_i32_e32 0, v17
	s_cbranch_execz .LBB6_311
; %bb.286:                              ;   in Loop: Header=BB6_70 Depth=1
	v_dual_mov_b32 v15, v70 :: v_dual_and_b32 v10, 7, v34
	v_dual_mov_b32 v14, v34 :: v_dual_mov_b32 v83, v65
	v_add_co_u32 v96, vcc_lo, 0, 0
	s_delay_alu instid0(VALU_DEP_3) | instskip(SKIP_4) | instid1(VALU_DEP_4)
	v_mul_lo_u32 v10, v10, s14
	v_mov_b32_e32 v16, v71
	v_mov_b32_e32 v52, v3
	;; [unrolled: 1-line block ×3, first 2 shown]
	s_mov_b32 s20, 0
	v_ashrrev_i32_e32 v11, 31, v10
	s_delay_alu instid0(VALU_DEP_1) | instskip(SKIP_2) | instid1(VALU_DEP_3)
	v_lshlrev_b64 v[12:13], 4, v[10:11]
	v_add_co_ci_u32_e32 v11, vcc_lo, 1, v14, vcc_lo
	v_mov_b32_e32 v14, v0
	v_add_co_u32 v84, vcc_lo, v1, v12
	s_delay_alu instid0(VALU_DEP_4)
	v_add_co_ci_u32_e32 v85, vcc_lo, v117, v13, vcc_lo
	s_branch .LBB6_288
.LBB6_287:                              ;   in Loop: Header=BB6_288 Depth=2
	v_add_co_u32 v82, vcc_lo, v82, v102
	v_sub_nc_u32_e32 v17, v17, v102
	v_add_co_ci_u32_e32 v83, vcc_lo, v83, v114, vcc_lo
	v_add_co_u32 v15, vcc_lo, v15, v102
	v_add_co_ci_u32_e32 v16, vcc_lo, v16, v114, vcc_lo
	s_delay_alu instid0(VALU_DEP_4)
	v_cmp_gt_i32_e32 vcc_lo, 1, v17
	v_add_co_u32 v84, s9, v84, v68
	v_add_nc_u32_e32 v14, v14, v2
	v_add_nc_u32_e32 v52, v52, v116
	v_add_co_ci_u32_e64 v85, s9, v85, v69, s9
	s_or_b32 s20, vcc_lo, s20
	s_delay_alu instid0(SALU_CYCLE_1)
	s_and_not1_b32 exec_lo, exec_lo, s20
	s_cbranch_execz .LBB6_310
.LBB6_288:                              ;   Parent Loop BB6_70 Depth=1
                                        ; =>  This Inner Loop Header: Depth=2
	v_add_co_u32 v86, vcc_lo, v100, v82
	v_add_co_ci_u32_e32 v13, vcc_lo, v103, v83, vcc_lo
	v_min_u32_e32 v87, 8, v17
	s_delay_alu instid0(VALU_DEP_3) | instskip(SKIP_4) | instid1(VALU_DEP_1)
	v_dual_mov_b32 v97, 0 :: v_dual_and_b32 v12, -4, v86
	v_and_b32_e32 v86, 3, v86
	v_mov_b32_e32 v128, 0
	flat_load_b32 v10, v[12:13] glc
	v_add_co_u32 v86, s9, v86, v87
	v_add_co_ci_u32_e64 v87, null, 0, 0, s9
	s_mov_b32 s9, exec_lo
	s_delay_alu instid0(VALU_DEP_1)
	v_cmpx_lt_u64_e32 4, v[86:87]
	s_cbranch_execz .LBB6_290
; %bb.289:                              ;   in Loop: Header=BB6_288 Depth=2
	flat_load_b32 v128, v[12:13] offset:4 glc
.LBB6_290:                              ;   in Loop: Header=BB6_288 Depth=2
	s_or_b32 exec_lo, exec_lo, s9
	s_delay_alu instid0(SALU_CYCLE_1)
	s_mov_b32 s9, exec_lo
	v_cmpx_lt_u64_e32 8, v[86:87]
	s_cbranch_execz .LBB6_292
; %bb.291:                              ;   in Loop: Header=BB6_288 Depth=2
	flat_load_b32 v97, v[12:13] offset:8 glc
.LBB6_292:                              ;   in Loop: Header=BB6_288 Depth=2
	s_or_b32 exec_lo, exec_lo, s9
	s_waitcnt vmcnt(0) lgkmcnt(0)
	v_alignbit_b32 v86, v128, v10, v52
	v_alignbit_b32 v87, v97, v128, v52
	v_cmp_lt_u32_e32 vcc_lo, 7, v17
	v_mov_b32_e32 v13, v11
	s_delay_alu instid0(VALU_DEP_4) | instskip(NEXT) | instid1(VALU_DEP_4)
	v_or_b32_e32 v10, v96, v86
	v_or_b32_e32 v12, v96, v87
	v_cndmask_b32_e64 v97, 0, 1, vcc_lo
	global_store_b128 v[84:85], v[10:13], off
	;;#ASMSTART
	;;#ASMEND
	v_cmp_ne_u32_e64 s9, 0, v97
	v_add_co_u32 v12, s10, v15, v100
	s_delay_alu instid0(VALU_DEP_1) | instskip(NEXT) | instid1(VALU_DEP_3)
	v_add_co_ci_u32_e64 v13, s10, v16, v103, s10
	s_cmp_lg_u32 s9, exec_lo
	s_mov_b32 s9, -1
	s_cbranch_scc0 .LBB6_308
; %bb.293:                              ;   in Loop: Header=BB6_288 Depth=2
	s_mov_b32 s10, exec_lo
	flat_store_b8 v[12:13], v86
	v_cmpx_ne_u32_e32 1, v17
	s_cbranch_execz .LBB6_295
; %bb.294:                              ;   in Loop: Header=BB6_288 Depth=2
	v_lshrrev_b32_e32 v10, 8, v86
	flat_store_b8 v[12:13], v10 offset:1
.LBB6_295:                              ;   in Loop: Header=BB6_288 Depth=2
	s_or_b32 exec_lo, exec_lo, s10
	s_delay_alu instid0(SALU_CYCLE_1)
	s_mov_b32 s10, exec_lo
	v_cmpx_lt_u32_e32 2, v17
	s_cbranch_execz .LBB6_297
; %bb.296:                              ;   in Loop: Header=BB6_288 Depth=2
	flat_store_d16_hi_b8 v[12:13], v86 offset:2
.LBB6_297:                              ;   in Loop: Header=BB6_288 Depth=2
	s_or_b32 exec_lo, exec_lo, s10
	s_delay_alu instid0(SALU_CYCLE_1)
	s_mov_b32 s10, exec_lo
	v_cmpx_lt_u32_e32 3, v17
	s_cbranch_execz .LBB6_299
; %bb.298:                              ;   in Loop: Header=BB6_288 Depth=2
	v_lshrrev_b32_e32 v10, 24, v86
	flat_store_b8 v[12:13], v10 offset:3
.LBB6_299:                              ;   in Loop: Header=BB6_288 Depth=2
	s_or_b32 exec_lo, exec_lo, s10
	s_delay_alu instid0(SALU_CYCLE_1)
	s_mov_b32 s10, exec_lo
	v_cmpx_lt_u32_e32 4, v17
	s_cbranch_execz .LBB6_301
; %bb.300:                              ;   in Loop: Header=BB6_288 Depth=2
	flat_store_b8 v[12:13], v87 offset:4
.LBB6_301:                              ;   in Loop: Header=BB6_288 Depth=2
	s_or_b32 exec_lo, exec_lo, s10
	s_delay_alu instid0(SALU_CYCLE_1)
	s_mov_b32 s10, exec_lo
	v_cmpx_lt_u32_e32 5, v17
	s_cbranch_execz .LBB6_303
; %bb.302:                              ;   in Loop: Header=BB6_288 Depth=2
	v_lshrrev_b32_e32 v10, 8, v87
	flat_store_b8 v[12:13], v10 offset:5
.LBB6_303:                              ;   in Loop: Header=BB6_288 Depth=2
	s_or_b32 exec_lo, exec_lo, s10
	s_delay_alu instid0(SALU_CYCLE_1)
	s_mov_b32 s10, exec_lo
	v_cmpx_lt_u32_e32 6, v17
	s_cbranch_execz .LBB6_305
; %bb.304:                              ;   in Loop: Header=BB6_288 Depth=2
	flat_store_d16_hi_b8 v[12:13], v87 offset:6
.LBB6_305:                              ;   in Loop: Header=BB6_288 Depth=2
	s_or_b32 exec_lo, exec_lo, s10
	s_and_saveexec_b32 s9, vcc_lo
	s_cbranch_execz .LBB6_307
; %bb.306:                              ;   in Loop: Header=BB6_288 Depth=2
	v_lshrrev_b32_e32 v10, 24, v87
	flat_store_b8 v[12:13], v10 offset:7
.LBB6_307:                              ;   in Loop: Header=BB6_288 Depth=2
	s_or_b32 exec_lo, exec_lo, s9
	s_mov_b32 s9, 0
.LBB6_308:                              ;   in Loop: Header=BB6_288 Depth=2
	s_delay_alu instid0(SALU_CYCLE_1)
	s_and_b32 vcc_lo, exec_lo, s9
	s_cbranch_vccz .LBB6_287
; %bb.309:                              ;   in Loop: Header=BB6_288 Depth=2
	global_store_b64 v[12:13], v[86:87], off
	s_branch .LBB6_287
.LBB6_310:                              ;   in Loop: Header=BB6_70 Depth=1
	s_or_b32 exec_lo, exec_lo, s20
.LBB6_311:                              ;   in Loop: Header=BB6_70 Depth=1
	s_delay_alu instid0(SALU_CYCLE_1) | instskip(SKIP_2) | instid1(VALU_DEP_2)
	s_or_b32 exec_lo, exec_lo, s19
	v_and_b32_e32 v52, 0x7ffffff8, v34
	v_cmp_gt_i32_e64 s9, s14, v14
	v_cmp_eq_u64_e32 vcc_lo, 0x7ffffff8, v[52:53]
	s_delay_alu instid0(VALU_DEP_2) | instskip(NEXT) | instid1(SALU_CYCLE_1)
	s_and_b32 s9, vcc_lo, s9
	s_and_saveexec_b32 s10, s9
	s_cbranch_execz .LBB6_314
; %bb.312:                              ;   in Loop: Header=BB6_70 Depth=1
	v_and_b32_e32 v10, 7, v34
	v_ashrrev_i32_e32 v15, 31, v14
	s_mov_b32 s19, 0
	s_delay_alu instid0(VALU_DEP_1) | instskip(SKIP_2) | instid1(VALU_DEP_1)
	v_lshlrev_b64 v[12:13], 4, v[14:15]
	v_mov_b32_e32 v15, v34
	v_mul_lo_u32 v10, v10, s14
	v_ashrrev_i32_e32 v11, 31, v10
	s_delay_alu instid0(VALU_DEP_1) | instskip(NEXT) | instid1(VALU_DEP_1)
	v_lshlrev_b64 v[10:11], 4, v[10:11]
	v_add_co_u32 v12, vcc_lo, v12, v10
	s_delay_alu instid0(VALU_DEP_2) | instskip(SKIP_2) | instid1(VALU_DEP_4)
	v_add_co_ci_u32_e32 v13, vcc_lo, v13, v11, vcc_lo
	v_add_co_u32 v10, vcc_lo, 0, 0
	v_add_co_ci_u32_e32 v11, vcc_lo, 1, v15, vcc_lo
	v_add_co_u32 v15, vcc_lo, v32, v12
	s_delay_alu instid0(VALU_DEP_4)
	v_add_co_ci_u32_e32 v16, vcc_lo, v33, v13, vcc_lo
.LBB6_313:                              ;   Parent Loop BB6_70 Depth=1
                                        ; =>  This Inner Loop Header: Depth=2
	s_delay_alu instid0(VALU_DEP_3) | instskip(SKIP_4) | instid1(VALU_DEP_1)
	v_dual_mov_b32 v12, v10 :: v_dual_mov_b32 v13, v11
	v_add_nc_u32_e32 v14, v14, v2
	global_store_b128 v[15:16], v[10:13], off
	v_cmp_le_i32_e32 vcc_lo, s14, v14
	v_add_co_u32 v15, s9, v15, v68
	v_add_co_ci_u32_e64 v16, s9, v16, v69, s9
	s_or_b32 s19, vcc_lo, s19
	s_delay_alu instid0(SALU_CYCLE_1)
	s_and_not1_b32 exec_lo, exec_lo, s19
	s_cbranch_execnz .LBB6_313
.LBB6_314:                              ;   in Loop: Header=BB6_70 Depth=1
	s_or_b32 exec_lo, exec_lo, s10
	v_add_co_u32 v34, vcc_lo, v34, 1
	v_add_co_ci_u32_e32 v35, vcc_lo, 0, v35, vcc_lo
                                        ; implicit-def: $vgpr13
                                        ; implicit-def: $vgpr12
.LBB6_315:                              ;   in Loop: Header=BB6_70 Depth=1
	s_and_not1_saveexec_b32 s10, s18
	s_cbranch_execz .LBB6_68
; %bb.316:                              ;   in Loop: Header=BB6_70 Depth=1
	s_and_saveexec_b32 s9, s3
	s_cbranch_execz .LBB6_334
; %bb.317:                              ;   in Loop: Header=BB6_70 Depth=1
	v_add_co_u32 v10, vcc_lo, v8, 1
	v_add_co_ci_u32_e32 v11, vcc_lo, 0, v9, vcc_lo
	s_waitcnt vmcnt(0) lgkmcnt(0)
	v_add_co_u32 v14, vcc_lo, v48, 8
	v_add_co_ci_u32_e32 v15, vcc_lo, 0, v49, vcc_lo
	s_mov_b32 s18, exec_lo
	s_delay_alu instid0(VALU_DEP_1)
	v_cmpx_lt_u64_e64 v[14:15], v[10:11]
	s_cbranch_execz .LBB6_331
; %bb.318:                              ;   in Loop: Header=BB6_70 Depth=1
	s_sleep 1
	flat_load_b64 v[48:49], v[38:39] glc
	v_cmp_eq_u32_e32 vcc_lo, 0, v119
	s_and_saveexec_b32 s19, vcc_lo
	s_cbranch_execz .LBB6_330
; %bb.319:                              ;   in Loop: Header=BB6_70 Depth=1
	v_cndmask_b32_e64 v9, 0, 1, vcc_lo
	s_mov_b32 s20, 0
                                        ; implicit-def: $sgpr21
	s_branch .LBB6_323
.LBB6_320:                              ;   in Loop: Header=BB6_323 Depth=2
	s_or_b32 exec_lo, exec_lo, s24
	s_delay_alu instid0(SALU_CYCLE_1)
	s_or_not1_b32 s24, s25, exec_lo
.LBB6_321:                              ;   in Loop: Header=BB6_323 Depth=2
	s_or_b32 exec_lo, exec_lo, s23
	s_xor_b32 s23, s24, -1
	s_and_not1_b32 s21, s21, exec_lo
	s_and_b32 s23, s23, exec_lo
	s_delay_alu instid0(SALU_CYCLE_1)
	s_or_b32 s21, s21, s23
.LBB6_322:                              ;   in Loop: Header=BB6_323 Depth=2
	s_or_b32 exec_lo, exec_lo, s22
	s_delay_alu instid0(SALU_CYCLE_1) | instskip(NEXT) | instid1(SALU_CYCLE_1)
	s_and_b32 s22, exec_lo, s21
	s_or_b32 s20, s22, s20
	s_delay_alu instid0(SALU_CYCLE_1)
	s_and_not1_b32 exec_lo, exec_lo, s20
	s_cbranch_execz .LBB6_329
.LBB6_323:                              ;   Parent Loop BB6_70 Depth=1
                                        ; =>  This Inner Loop Header: Depth=2
	s_waitcnt vmcnt(0) lgkmcnt(0)
	v_add_co_u32 v14, vcc_lo, v48, 8
	v_add_co_ci_u32_e32 v15, vcc_lo, 0, v49, vcc_lo
	v_mov_b32_e32 v119, 0
	s_or_b32 s21, s21, exec_lo
	s_mov_b32 s22, exec_lo
	s_delay_alu instid0(VALU_DEP_2)
	v_cmpx_lt_u64_e64 v[14:15], v[10:11]
	s_cbranch_execz .LBB6_322
; %bb.324:                              ;   in Loop: Header=BB6_323 Depth=2
	s_sleep 1
	flat_load_b64 v[48:49], v[38:39] glc
	v_add_nc_u32_e32 v9, 1, v9
	v_mov_b32_e32 v119, 0
	s_mov_b32 s24, -1
	s_mov_b32 s23, exec_lo
	s_delay_alu instid0(VALU_DEP_2)
	v_cmpx_eq_u32_e32 0x2710, v9
	s_cbranch_execz .LBB6_321
; %bb.325:                              ;   in Loop: Header=BB6_323 Depth=2
	s_cbranch_execnz .LBB6_394
; %bb.326:                              ;   in Loop: Header=BB6_323 Depth=2
	ds_load_b64 v[14:15], v0
	v_mov_b32_e32 v9, 0
	v_mov_b32_e32 v119, 0
	s_mov_b32 s25, -1
	s_mov_b32 s24, exec_lo
	s_waitcnt vmcnt(0) lgkmcnt(0)
	s_waitcnt_vscnt null, 0x0
	flat_load_b32 v14, v[14:15] glc
	s_waitcnt vmcnt(0) lgkmcnt(0)
	buffer_gl1_inv
	buffer_gl0_inv
	v_cmpx_ne_u32_e32 0, v14
	s_cbranch_execz .LBB6_320
; %bb.327:                              ;   in Loop: Header=BB6_323 Depth=2
	ds_store_b32 v0, v14
	s_cbranch_execnz .LBB6_427
; %bb.328:                              ;   in Loop: Header=BB6_323 Depth=2
	v_mov_b32_e32 v119, 1
	s_xor_b32 s25, exec_lo, -1
	s_branch .LBB6_320
.LBB6_329:                              ;   in Loop: Header=BB6_70 Depth=1
	s_or_b32 exec_lo, exec_lo, s20
.LBB6_330:                              ;   in Loop: Header=BB6_70 Depth=1
	s_delay_alu instid0(SALU_CYCLE_1)
	s_or_b32 exec_lo, exec_lo, s19
.LBB6_331:                              ;   in Loop: Header=BB6_70 Depth=1
	s_delay_alu instid0(SALU_CYCLE_1)
	s_or_b32 exec_lo, exec_lo, s18
	s_and_saveexec_b32 s18, s4
	s_cbranch_execz .LBB6_333
; %bb.332:                              ;   in Loop: Header=BB6_70 Depth=1
	v_and_b32_e32 v52, 0x7ffffff8, v8
	v_and_b32_e32 v15, 7, v8
	s_delay_alu instid0(VALU_DEP_2) | instskip(SKIP_1) | instid1(VALU_DEP_3)
	v_cmp_eq_u64_e32 vcc_lo, 0x7ffffff8, v[52:53]
	v_cndmask_b32_e64 v9, v13, s14, vcc_lo
	v_mad_u64_u32 v[13:14], null, v15, 24, v[6:7]
	s_delay_alu instid0(VALU_DEP_2) | instskip(NEXT) | instid1(VALU_DEP_1)
	v_lshlrev_b32_e32 v8, 4, v9
	v_ashrrev_i32_e32 v9, 31, v8
	flat_store_b64 v[13:14], v[8:9] offset:8 dlc
	s_waitcnt_vscnt null, 0x0
.LBB6_333:                              ;   in Loop: Header=BB6_70 Depth=1
	s_or_b32 exec_lo, exec_lo, s18
	v_dual_mov_b32 v8, v10 :: v_dual_mov_b32 v9, v11
.LBB6_334:                              ;   in Loop: Header=BB6_70 Depth=1
	s_or_b32 exec_lo, exec_lo, s9
	s_and_saveexec_b32 s9, s5
	s_cbranch_execz .LBB6_356
; %bb.335:                              ;   in Loop: Header=BB6_70 Depth=1
	s_and_saveexec_b32 s18, s6
	s_delay_alu instid0(SALU_CYCLE_1)
	s_xor_b32 s18, exec_lo, s18
	s_cbranch_execz .LBB6_353
; %bb.336:                              ;   in Loop: Header=BB6_70 Depth=1
	s_and_saveexec_b32 s19, s7
	s_cbranch_execz .LBB6_352
; %bb.337:                              ;   in Loop: Header=BB6_70 Depth=1
	s_mov_b32 s21, exec_lo
	s_mov_b32 s20, exec_lo
	v_mbcnt_lo_u32_b32 v10, s21, 0
	s_waitcnt vmcnt(0) lgkmcnt(0)
	s_waitcnt_vscnt null, 0x0
	buffer_gl1_inv
	buffer_gl0_inv
	v_cmpx_eq_u32_e32 0, v10
	s_cbranch_execz .LBB6_339
; %bb.338:                              ;   in Loop: Header=BB6_70 Depth=1
	s_bcnt1_i32_b32 s21, s21
	s_delay_alu instid0(SALU_CYCLE_1)
	v_mov_b32_e32 v52, s21
	ds_add_u64 v0, v[52:53]
	s_cbranch_execnz .LBB6_419
.LBB6_339:                              ;   in Loop: Header=BB6_70 Depth=1
	s_or_b32 exec_lo, exec_lo, s20
	s_cbranch_execnz .LBB6_409
; %bb.340:                              ;   in Loop: Header=BB6_70 Depth=1
	ds_load_b64 v[10:11], v0
	v_add_co_u32 v50, vcc_lo, v50, v99
	v_add_co_ci_u32_e32 v51, vcc_lo, v51, v101, vcc_lo
	s_mov_b32 s20, exec_lo
	s_waitcnt lgkmcnt(0)
	s_delay_alu instid0(VALU_DEP_1)
	v_cmpx_lt_u64_e64 v[10:11], v[50:51]
	s_cbranch_execz .LBB6_351
; %bb.341:                              ;   in Loop: Header=BB6_70 Depth=1
	s_mov_b32 s21, 0
	s_mov_b32 s24, 0
                                        ; implicit-def: $sgpr22
                                        ; implicit-def: $sgpr23
	s_branch .LBB6_343
.LBB6_342:                              ;   in Loop: Header=BB6_343 Depth=2
	s_or_b32 exec_lo, exec_lo, s27
	s_delay_alu instid0(SALU_CYCLE_1) | instskip(NEXT) | instid1(SALU_CYCLE_1)
	s_and_b32 s25, exec_lo, s26
	s_or_b32 s21, s25, s21
	s_and_not1_b32 s22, s22, exec_lo
	s_and_b32 s25, s23, exec_lo
	s_delay_alu instid0(SALU_CYCLE_1)
	s_or_b32 s22, s22, s25
	s_and_not1_b32 exec_lo, exec_lo, s21
	s_cbranch_execz .LBB6_349
.LBB6_343:                              ;   Parent Loop BB6_70 Depth=1
                                        ; =>  This Inner Loop Header: Depth=2
	s_add_i32 s24, s24, 1
                                        ; implicit-def: $sgpr26
	s_delay_alu instid0(SALU_CYCLE_1) | instskip(SKIP_1) | instid1(SALU_CYCLE_1)
	s_cmpk_lg_i32 s24, 0x2710
	s_cselect_b32 s25, -1, 0
	s_and_b32 vcc_lo, exec_lo, s25
	s_cbranch_vccz .LBB6_347
.LBB6_344:                              ;   in Loop: Header=BB6_343 Depth=2
	s_and_not1_b32 s23, s23, exec_lo
	s_and_b32 s27, s26, exec_lo
	s_mov_b32 s26, -1
	s_or_b32 s23, s23, s27
	s_and_saveexec_b32 s27, s25
	s_cbranch_execz .LBB6_342
; %bb.345:                              ;   in Loop: Header=BB6_343 Depth=2
	s_sleep 1
	s_cbranch_execnz .LBB6_441
; %bb.346:                              ;   in Loop: Header=BB6_343 Depth=2
	ds_load_b64 v[10:11], v0
	s_and_not1_b32 s23, s23, exec_lo
	s_waitcnt lgkmcnt(0)
	v_cmp_ge_u64_e32 vcc_lo, v[10:11], v[50:51]
	s_or_not1_b32 s26, vcc_lo, exec_lo
	s_branch .LBB6_342
.LBB6_347:                              ;   in Loop: Header=BB6_343 Depth=2
	s_cbranch_execnz .LBB6_445
; %bb.348:                              ;   in Loop: Header=BB6_343 Depth=2
	ds_load_b64 v[10:11], v0
	s_and_not1_b32 s25, s25, exec_lo
	s_mov_b32 s24, 0
	s_mov_b32 s26, -1
	s_waitcnt lgkmcnt(0)
	flat_load_b32 v10, v[10:11] glc
	s_waitcnt vmcnt(0) lgkmcnt(0)
	buffer_gl1_inv
	buffer_gl0_inv
	v_cmp_eq_u32_e32 vcc_lo, 0, v10
	s_and_b32 s27, vcc_lo, exec_lo
	s_delay_alu instid0(SALU_CYCLE_1)
	s_or_b32 s25, s25, s27
	s_branch .LBB6_344
.LBB6_349:                              ;   in Loop: Header=BB6_70 Depth=1
	s_or_b32 exec_lo, exec_lo, s21
	s_and_saveexec_b32 s21, s22
	s_delay_alu instid0(SALU_CYCLE_1)
	s_xor_b32 s21, exec_lo, s21
	s_cbranch_execz .LBB6_351
; %bb.350:                              ;   in Loop: Header=BB6_70 Depth=1
	ds_store_b32 v0, v118
	s_cbranch_execnz .LBB6_469
.LBB6_351:                              ;   in Loop: Header=BB6_70 Depth=1
	s_or_b32 exec_lo, exec_lo, s20
	;;#ASMSTART
	s_wakeup
	;;#ASMEND
.LBB6_352:                              ;   in Loop: Header=BB6_70 Depth=1
	s_or_b32 exec_lo, exec_lo, s19
.LBB6_353:                              ;   in Loop: Header=BB6_70 Depth=1
	s_and_not1_saveexec_b32 s18, s18
	s_cbranch_execz .LBB6_355
; %bb.354:                              ;   in Loop: Header=BB6_70 Depth=1
	s_waitcnt vmcnt(0) lgkmcnt(0)
	s_waitcnt_vscnt null, 0x0
	buffer_gl1_inv
	buffer_gl0_inv
	s_barrier
.LBB6_355:                              ;   in Loop: Header=BB6_70 Depth=1
	s_or_b32 exec_lo, exec_lo, s18
.LBB6_356:                              ;   in Loop: Header=BB6_70 Depth=1
	s_delay_alu instid0(SALU_CYCLE_1) | instskip(SKIP_3) | instid1(VALU_DEP_2)
	s_or_b32 exec_lo, exec_lo, s9
	v_sub_nc_u32_e32 v52, v12, v100
	v_dual_mov_b32 v14, v0 :: v_dual_and_b32 v17, 7, v34
	s_mov_b32 s18, exec_lo
	v_cmpx_lt_i32_e32 0, v52
	s_cbranch_execz .LBB6_364
; %bb.357:                              ;   in Loop: Header=BB6_70 Depth=1
	s_delay_alu instid0(VALU_DEP_2)
	v_mul_lo_u32 v10, v17, s14
	v_mov_b32_e32 v14, v34
	v_add_co_u32 v87, vcc_lo, 0, 0
	v_dual_mov_b32 v86, v3 :: v_dual_mov_b32 v15, v66
	v_mov_b32_e32 v16, v67
	s_mov_b32 s19, 0
	v_ashrrev_i32_e32 v11, 31, v10
	s_delay_alu instid0(VALU_DEP_1) | instskip(SKIP_2) | instid1(VALU_DEP_3)
	v_lshlrev_b64 v[12:13], 4, v[10:11]
	v_add_co_ci_u32_e32 v11, vcc_lo, 1, v14, vcc_lo
	v_mov_b32_e32 v14, v0
	v_add_co_u32 v82, vcc_lo, v1, v12
	s_delay_alu instid0(VALU_DEP_4)
	v_add_co_ci_u32_e32 v83, vcc_lo, v117, v13, vcc_lo
	s_set_inst_prefetch_distance 0x1
	s_branch .LBB6_359
.LBB6_358:                              ;   in Loop: Header=BB6_359 Depth=2
	s_or_b32 exec_lo, exec_lo, s9
	s_waitcnt vmcnt(0) lgkmcnt(0)
	v_alignbit_b32 v10, v97, v10, v86
	v_alignbit_b32 v12, v96, v97, v86
	v_dual_mov_b32 v13, v11 :: v_dual_add_nc_u32 v14, v14, v2
	v_sub_nc_u32_e32 v52, v52, v102
	s_delay_alu instid0(VALU_DEP_4) | instskip(NEXT) | instid1(VALU_DEP_4)
	v_or_b32_e32 v10, v87, v10
	v_or_b32_e32 v12, v87, v12
	v_add_co_u32 v15, vcc_lo, v15, v102
	v_add_co_ci_u32_e32 v16, vcc_lo, v16, v114, vcc_lo
	global_store_b128 v[82:83], v[10:13], off
	v_cmp_gt_i32_e32 vcc_lo, 1, v52
	v_add_co_u32 v82, s9, v82, v68
	v_add_nc_u32_e32 v86, v86, v116
	v_add_co_ci_u32_e64 v83, s9, v83, v69, s9
	s_or_b32 s19, vcc_lo, s19
	s_delay_alu instid0(SALU_CYCLE_1)
	s_and_not1_b32 exec_lo, exec_lo, s19
	s_cbranch_execz .LBB6_363
.LBB6_359:                              ;   Parent Loop BB6_70 Depth=1
                                        ; =>  This Inner Loop Header: Depth=2
	v_dual_mov_b32 v13, v16 :: v_dual_and_b32 v12, -4, v15
	v_min_u32_e32 v84, 8, v52
	v_dual_mov_b32 v96, 0 :: v_dual_and_b32 v85, 3, v15
	v_mov_b32_e32 v97, 0
	flat_load_b32 v10, v[12:13] glc
	v_add_co_u32 v84, s9, v85, v84
	s_delay_alu instid0(VALU_DEP_1) | instskip(SKIP_1) | instid1(VALU_DEP_1)
	v_add_co_ci_u32_e64 v85, null, 0, 0, s9
	s_mov_b32 s9, exec_lo
	v_cmpx_lt_u64_e32 4, v[84:85]
	s_cbranch_execz .LBB6_361
; %bb.360:                              ;   in Loop: Header=BB6_359 Depth=2
	flat_load_b32 v97, v[12:13] offset:4 glc
.LBB6_361:                              ;   in Loop: Header=BB6_359 Depth=2
	s_or_b32 exec_lo, exec_lo, s9
	s_delay_alu instid0(SALU_CYCLE_1)
	s_mov_b32 s9, exec_lo
	v_cmpx_lt_u64_e32 8, v[84:85]
	s_cbranch_execz .LBB6_358
; %bb.362:                              ;   in Loop: Header=BB6_359 Depth=2
	flat_load_b32 v96, v[12:13] offset:8 glc
	s_branch .LBB6_358
.LBB6_363:                              ;   in Loop: Header=BB6_70 Depth=1
	s_set_inst_prefetch_distance 0x2
	s_or_b32 exec_lo, exec_lo, s19
.LBB6_364:                              ;   in Loop: Header=BB6_70 Depth=1
	s_delay_alu instid0(SALU_CYCLE_1) | instskip(SKIP_2) | instid1(VALU_DEP_2)
	s_or_b32 exec_lo, exec_lo, s18
	v_and_b32_e32 v52, 0x7ffffff8, v34
	v_cmp_gt_i32_e64 s9, s14, v14
	v_cmp_eq_u64_e32 vcc_lo, 0x7ffffff8, v[52:53]
	s_delay_alu instid0(VALU_DEP_2) | instskip(NEXT) | instid1(SALU_CYCLE_1)
	s_and_b32 s9, vcc_lo, s9
	s_and_saveexec_b32 s18, s9
	s_cbranch_execz .LBB6_67
; %bb.365:                              ;   in Loop: Header=BB6_70 Depth=1
	v_mul_lo_u32 v10, v17, s14
	v_ashrrev_i32_e32 v15, 31, v14
	s_mov_b32 s19, 0
	s_delay_alu instid0(VALU_DEP_1) | instskip(SKIP_1) | instid1(VALU_DEP_4)
	v_lshlrev_b64 v[12:13], 4, v[14:15]
	v_mov_b32_e32 v15, v34
	v_ashrrev_i32_e32 v11, 31, v10
	s_delay_alu instid0(VALU_DEP_1) | instskip(NEXT) | instid1(VALU_DEP_1)
	v_lshlrev_b64 v[10:11], 4, v[10:11]
	v_add_co_u32 v12, vcc_lo, v12, v10
	s_delay_alu instid0(VALU_DEP_2) | instskip(SKIP_2) | instid1(VALU_DEP_4)
	v_add_co_ci_u32_e32 v13, vcc_lo, v13, v11, vcc_lo
	v_add_co_u32 v10, vcc_lo, 0, 0
	v_add_co_ci_u32_e32 v11, vcc_lo, 1, v15, vcc_lo
	v_add_co_u32 v15, vcc_lo, v32, v12
	s_delay_alu instid0(VALU_DEP_4)
	v_add_co_ci_u32_e32 v16, vcc_lo, v33, v13, vcc_lo
.LBB6_366:                              ;   Parent Loop BB6_70 Depth=1
                                        ; =>  This Inner Loop Header: Depth=2
	s_delay_alu instid0(VALU_DEP_3) | instskip(SKIP_4) | instid1(VALU_DEP_1)
	v_dual_mov_b32 v12, v10 :: v_dual_mov_b32 v13, v11
	v_add_nc_u32_e32 v14, v14, v2
	global_store_b128 v[15:16], v[10:13], off
	v_cmp_le_i32_e32 vcc_lo, s14, v14
	v_add_co_u32 v15, s9, v15, v68
	v_add_co_ci_u32_e64 v16, s9, v16, v69, s9
	s_or_b32 s19, vcc_lo, s19
	s_delay_alu instid0(SALU_CYCLE_1)
	s_and_not1_b32 exec_lo, exec_lo, s19
	s_cbranch_execnz .LBB6_366
	s_branch .LBB6_67
.LBB6_367:
	s_trap 2
	s_sendmsg_rtn_b32 s0, sendmsg(MSG_RTN_GET_DOORBELL)
	s_mov_b32 ttmp2, m0
	s_waitcnt lgkmcnt(0)
	s_and_b32 s0, s0, 0x3ff
	s_delay_alu instid0(SALU_CYCLE_1) | instskip(NEXT) | instid1(SALU_CYCLE_1)
	s_bitset1_b32 s0, 10
	s_mov_b32 m0, s0
	s_sendmsg sendmsg(MSG_INTERRUPT)
	s_mov_b32 m0, ttmp2
.LBB6_368:                              ; =>This Inner Loop Header: Depth=1
	s_sethalt 5
	s_branch .LBB6_368
.LBB6_369:
	s_trap 2
	s_sendmsg_rtn_b32 s0, sendmsg(MSG_RTN_GET_DOORBELL)
	s_mov_b32 ttmp2, m0
	s_waitcnt lgkmcnt(0)
	s_and_b32 s0, s0, 0x3ff
	s_delay_alu instid0(SALU_CYCLE_1) | instskip(NEXT) | instid1(SALU_CYCLE_1)
	s_bitset1_b32 s0, 10
	s_mov_b32 m0, s0
	s_sendmsg sendmsg(MSG_INTERRUPT)
	s_mov_b32 m0, ttmp2
.LBB6_370:                              ; =>This Inner Loop Header: Depth=1
	s_sethalt 5
	s_branch .LBB6_370
.LBB6_371:
	s_or_b32 exec_lo, exec_lo, s15
.LBB6_372:
	s_delay_alu instid0(SALU_CYCLE_1)
	s_or_b32 exec_lo, exec_lo, s13
	s_and_saveexec_b32 s1, s12
	s_cbranch_execz .LBB6_374
; %bb.373:
	s_waitcnt lgkmcnt(0)
	flat_store_b64 v[20:21], v[36:37] offset:104
.LBB6_374:
	s_or_b32 exec_lo, exec_lo, s1
	s_and_saveexec_b32 s1, s0
	s_cbranch_execz .LBB6_376
; %bb.375:
	s_waitcnt lgkmcnt(0)
	flat_store_b64 v[26:27], v[8:9] offset:104
.LBB6_376:
	s_or_b32 exec_lo, exec_lo, s1
	s_delay_alu instid0(SALU_CYCLE_1)
	s_mov_b32 s0, exec_lo
	v_cmpx_ne_u32_e32 32, v2
	s_cbranch_execz .LBB6_461
; %bb.377:
	s_mov_b32 s1, exec_lo
	v_cmpx_ne_u32_e64 v2, v30
	s_xor_b32 s1, exec_lo, s1
	s_cbranch_execz .LBB6_459
; %bb.378:
	v_and_b32_e32 v0, 31, v31
	s_mov_b32 s2, exec_lo
	s_delay_alu instid0(VALU_DEP_1)
	v_cmpx_eq_u32_e32 0, v0
	s_cbranch_execz .LBB6_458
; %bb.379:
	s_mov_b32 s4, exec_lo
	s_mov_b32 s3, exec_lo
	v_mbcnt_lo_u32_b32 v0, s4, 0
	s_waitcnt vmcnt(0) lgkmcnt(0)
	s_waitcnt_vscnt null, 0x0
	buffer_gl1_inv
	buffer_gl0_inv
	v_cmpx_eq_u32_e32 0, v0
	s_cbranch_execz .LBB6_381
; %bb.380:
	s_bcnt1_i32_b32 s4, s4
	s_delay_alu instid0(SALU_CYCLE_1)
	v_dual_mov_b32 v1, 0 :: v_dual_mov_b32 v0, s4
	ds_add_u64 v0, v[0:1]
	s_cbranch_execnz .LBB6_403
.LBB6_381:
	s_or_b32 exec_lo, exec_lo, s3
	s_cbranch_execnz .LBB6_388
; %bb.382:
	v_ashrrev_i32_e32 v0, 31, v2
	s_mov_b32 s3, exec_lo
	s_delay_alu instid0(VALU_DEP_1) | instskip(NEXT) | instid1(VALU_DEP_1)
	v_lshrrev_b32_e32 v0, 27, v0
	v_add_nc_u32_e32 v0, v2, v0
	ds_load_b64 v[2:3], v0
	v_ashrrev_i32_e32 v0, 5, v0
	s_delay_alu instid0(VALU_DEP_1) | instskip(SKIP_1) | instid1(VALU_DEP_2)
	v_ashrrev_i32_e32 v1, 31, v0
	v_add_co_u32 v0, vcc_lo, v50, v0
	v_add_co_ci_u32_e32 v1, vcc_lo, v51, v1, vcc_lo
	s_waitcnt lgkmcnt(0)
	s_delay_alu instid0(VALU_DEP_1)
	v_cmpx_lt_u64_e64 v[2:3], v[0:1]
	s_cbranch_execz .LBB6_457
; %bb.383:
	s_mov_b32 s4, 0
	s_mov_b32 s7, 0
                                        ; implicit-def: $sgpr5
                                        ; implicit-def: $sgpr6
	s_branch .LBB6_397
.LBB6_384:
	s_trap 2
	s_sendmsg_rtn_b32 s0, sendmsg(MSG_RTN_GET_DOORBELL)
	s_mov_b32 ttmp2, m0
	s_waitcnt lgkmcnt(0)
	s_and_b32 s0, s0, 0x3ff
	s_delay_alu instid0(SALU_CYCLE_1) | instskip(NEXT) | instid1(SALU_CYCLE_1)
	s_bitset1_b32 s0, 10
	s_mov_b32 m0, s0
	s_sendmsg sendmsg(MSG_INTERRUPT)
	s_mov_b32 m0, ttmp2
.LBB6_385:                              ; =>This Inner Loop Header: Depth=1
	s_sethalt 5
	s_branch .LBB6_385
.LBB6_386:
	s_trap 2
	s_sendmsg_rtn_b32 s0, sendmsg(MSG_RTN_GET_DOORBELL)
	s_mov_b32 ttmp2, m0
	s_waitcnt lgkmcnt(0)
	s_and_b32 s0, s0, 0x3ff
	s_delay_alu instid0(SALU_CYCLE_1) | instskip(NEXT) | instid1(SALU_CYCLE_1)
	s_bitset1_b32 s0, 10
	s_mov_b32 m0, s0
	s_sendmsg sendmsg(MSG_INTERRUPT)
	s_mov_b32 m0, ttmp2
.LBB6_387:                              ; =>This Inner Loop Header: Depth=1
	s_sethalt 5
	s_branch .LBB6_387
.LBB6_388:
	s_trap 2
	s_sendmsg_rtn_b32 s0, sendmsg(MSG_RTN_GET_DOORBELL)
	s_mov_b32 ttmp2, m0
	s_waitcnt lgkmcnt(0)
	s_and_b32 s0, s0, 0x3ff
	s_delay_alu instid0(SALU_CYCLE_1) | instskip(NEXT) | instid1(SALU_CYCLE_1)
	s_bitset1_b32 s0, 10
	s_mov_b32 m0, s0
	s_sendmsg sendmsg(MSG_INTERRUPT)
	s_mov_b32 m0, ttmp2
.LBB6_389:                              ; =>This Inner Loop Header: Depth=1
	s_sethalt 5
	s_branch .LBB6_389
.LBB6_390:
	s_trap 2
	s_sendmsg_rtn_b32 s0, sendmsg(MSG_RTN_GET_DOORBELL)
	s_mov_b32 ttmp2, m0
	s_waitcnt lgkmcnt(0)
	s_and_b32 s0, s0, 0x3ff
	s_delay_alu instid0(SALU_CYCLE_1) | instskip(NEXT) | instid1(SALU_CYCLE_1)
	s_bitset1_b32 s0, 10
	s_mov_b32 m0, s0
	s_sendmsg sendmsg(MSG_INTERRUPT)
	s_mov_b32 m0, ttmp2
.LBB6_391:                              ; =>This Inner Loop Header: Depth=1
	s_sethalt 5
	s_branch .LBB6_391
.LBB6_392:
	s_trap 2
	s_sendmsg_rtn_b32 s0, sendmsg(MSG_RTN_GET_DOORBELL)
	s_mov_b32 ttmp2, m0
	s_waitcnt lgkmcnt(0)
	s_and_b32 s0, s0, 0x3ff
	s_delay_alu instid0(SALU_CYCLE_1) | instskip(NEXT) | instid1(SALU_CYCLE_1)
	s_bitset1_b32 s0, 10
	s_mov_b32 m0, s0
	s_sendmsg sendmsg(MSG_INTERRUPT)
	s_mov_b32 m0, ttmp2
.LBB6_393:                              ; =>This Inner Loop Header: Depth=1
	s_sethalt 5
	s_branch .LBB6_393
.LBB6_394:
	s_trap 2
	s_sendmsg_rtn_b32 s0, sendmsg(MSG_RTN_GET_DOORBELL)
	s_mov_b32 ttmp2, m0
	s_waitcnt lgkmcnt(0)
	s_and_b32 s0, s0, 0x3ff
	s_delay_alu instid0(SALU_CYCLE_1) | instskip(NEXT) | instid1(SALU_CYCLE_1)
	s_bitset1_b32 s0, 10
	s_mov_b32 m0, s0
	s_sendmsg sendmsg(MSG_INTERRUPT)
	s_mov_b32 m0, ttmp2
.LBB6_395:                              ; =>This Inner Loop Header: Depth=1
	s_sethalt 5
	s_branch .LBB6_395
.LBB6_396:                              ;   in Loop: Header=BB6_397 Depth=1
	s_or_b32 exec_lo, exec_lo, s10
	s_delay_alu instid0(SALU_CYCLE_1) | instskip(NEXT) | instid1(SALU_CYCLE_1)
	s_and_b32 s8, exec_lo, s9
	s_or_b32 s4, s8, s4
	s_and_not1_b32 s5, s5, exec_lo
	s_and_b32 s8, s6, exec_lo
	s_delay_alu instid0(SALU_CYCLE_1)
	s_or_b32 s5, s5, s8
	s_and_not1_b32 exec_lo, exec_lo, s4
	s_cbranch_execz .LBB6_455
.LBB6_397:                              ; =>This Inner Loop Header: Depth=1
	s_add_i32 s7, s7, 1
                                        ; implicit-def: $sgpr9
	s_delay_alu instid0(SALU_CYCLE_1) | instskip(SKIP_1) | instid1(SALU_CYCLE_1)
	s_cmpk_lg_i32 s7, 0x2710
	s_cselect_b32 s8, -1, 0
	s_and_b32 vcc_lo, exec_lo, s8
	s_cbranch_vccz .LBB6_401
.LBB6_398:                              ;   in Loop: Header=BB6_397 Depth=1
	s_and_not1_b32 s6, s6, exec_lo
	s_and_b32 s10, s9, exec_lo
	s_mov_b32 s9, -1
	s_or_b32 s6, s6, s10
	s_and_saveexec_b32 s10, s8
	s_cbranch_execz .LBB6_396
; %bb.399:                              ;   in Loop: Header=BB6_397 Depth=1
	s_sleep 1
	s_cbranch_execnz .LBB6_423
; %bb.400:                              ;   in Loop: Header=BB6_397 Depth=1
	ds_load_b64 v[2:3], v0
	s_and_not1_b32 s6, s6, exec_lo
	s_waitcnt lgkmcnt(0)
	v_cmp_ge_u64_e32 vcc_lo, v[2:3], v[0:1]
	s_or_not1_b32 s9, vcc_lo, exec_lo
	s_branch .LBB6_396
.LBB6_401:                              ;   in Loop: Header=BB6_397 Depth=1
	s_cbranch_execnz .LBB6_429
; %bb.402:                              ;   in Loop: Header=BB6_397 Depth=1
	ds_load_b64 v[2:3], v0
	s_and_not1_b32 s8, s8, exec_lo
	s_mov_b32 s7, 0
	s_mov_b32 s9, -1
	s_waitcnt lgkmcnt(0)
	flat_load_b32 v2, v[2:3] glc
	s_waitcnt vmcnt(0) lgkmcnt(0)
	buffer_gl1_inv
	buffer_gl0_inv
	v_cmp_eq_u32_e32 vcc_lo, 0, v2
	s_and_b32 s10, vcc_lo, exec_lo
	s_delay_alu instid0(SALU_CYCLE_1)
	s_or_b32 s8, s8, s10
	s_branch .LBB6_398
.LBB6_403:
	s_trap 2
	s_sendmsg_rtn_b32 s0, sendmsg(MSG_RTN_GET_DOORBELL)
	s_mov_b32 ttmp2, m0
	s_waitcnt lgkmcnt(0)
	s_and_b32 s0, s0, 0x3ff
	s_delay_alu instid0(SALU_CYCLE_1) | instskip(NEXT) | instid1(SALU_CYCLE_1)
	s_bitset1_b32 s0, 10
	s_mov_b32 m0, s0
	s_sendmsg sendmsg(MSG_INTERRUPT)
	s_mov_b32 m0, ttmp2
.LBB6_404:                              ; =>This Inner Loop Header: Depth=1
	s_sethalt 5
	s_branch .LBB6_404
.LBB6_405:
	s_trap 2
	s_sendmsg_rtn_b32 s0, sendmsg(MSG_RTN_GET_DOORBELL)
	s_mov_b32 ttmp2, m0
	s_waitcnt lgkmcnt(0)
	s_and_b32 s0, s0, 0x3ff
	s_delay_alu instid0(SALU_CYCLE_1) | instskip(NEXT) | instid1(SALU_CYCLE_1)
	s_bitset1_b32 s0, 10
	s_mov_b32 m0, s0
	s_sendmsg sendmsg(MSG_INTERRUPT)
	s_mov_b32 m0, ttmp2
.LBB6_406:                              ; =>This Inner Loop Header: Depth=1
	s_sethalt 5
	s_branch .LBB6_406
.LBB6_407:
	s_trap 2
	s_sendmsg_rtn_b32 s0, sendmsg(MSG_RTN_GET_DOORBELL)
	s_mov_b32 ttmp2, m0
	s_waitcnt lgkmcnt(0)
	s_and_b32 s0, s0, 0x3ff
	s_delay_alu instid0(SALU_CYCLE_1) | instskip(NEXT) | instid1(SALU_CYCLE_1)
	s_bitset1_b32 s0, 10
	s_mov_b32 m0, s0
	s_sendmsg sendmsg(MSG_INTERRUPT)
	s_mov_b32 m0, ttmp2
.LBB6_408:                              ; =>This Inner Loop Header: Depth=1
	s_sethalt 5
	s_branch .LBB6_408
.LBB6_409:
	s_trap 2
	s_sendmsg_rtn_b32 s0, sendmsg(MSG_RTN_GET_DOORBELL)
	s_mov_b32 ttmp2, m0
	s_waitcnt lgkmcnt(0)
	s_and_b32 s0, s0, 0x3ff
	s_delay_alu instid0(SALU_CYCLE_1) | instskip(NEXT) | instid1(SALU_CYCLE_1)
	s_bitset1_b32 s0, 10
	s_mov_b32 m0, s0
	s_sendmsg sendmsg(MSG_INTERRUPT)
	s_mov_b32 m0, ttmp2
.LBB6_410:                              ; =>This Inner Loop Header: Depth=1
	s_sethalt 5
	s_branch .LBB6_410
.LBB6_411:
	s_trap 2
	s_sendmsg_rtn_b32 s0, sendmsg(MSG_RTN_GET_DOORBELL)
	s_mov_b32 ttmp2, m0
	s_waitcnt lgkmcnt(0)
	s_and_b32 s0, s0, 0x3ff
	s_delay_alu instid0(SALU_CYCLE_1) | instskip(NEXT) | instid1(SALU_CYCLE_1)
	s_bitset1_b32 s0, 10
	s_mov_b32 m0, s0
	s_sendmsg sendmsg(MSG_INTERRUPT)
	s_mov_b32 m0, ttmp2
.LBB6_412:                              ; =>This Inner Loop Header: Depth=1
	s_sethalt 5
	s_branch .LBB6_412
.LBB6_413:
	s_trap 2
	s_sendmsg_rtn_b32 s0, sendmsg(MSG_RTN_GET_DOORBELL)
	s_mov_b32 ttmp2, m0
	s_waitcnt lgkmcnt(0)
	s_and_b32 s0, s0, 0x3ff
	s_delay_alu instid0(SALU_CYCLE_1) | instskip(NEXT) | instid1(SALU_CYCLE_1)
	s_bitset1_b32 s0, 10
	s_mov_b32 m0, s0
	s_sendmsg sendmsg(MSG_INTERRUPT)
	s_mov_b32 m0, ttmp2
.LBB6_414:                              ; =>This Inner Loop Header: Depth=1
	s_sethalt 5
	s_branch .LBB6_414
.LBB6_415:
	s_trap 2
	s_sendmsg_rtn_b32 s0, sendmsg(MSG_RTN_GET_DOORBELL)
	s_mov_b32 ttmp2, m0
	s_waitcnt lgkmcnt(0)
	s_and_b32 s0, s0, 0x3ff
	s_delay_alu instid0(SALU_CYCLE_1) | instskip(NEXT) | instid1(SALU_CYCLE_1)
	s_bitset1_b32 s0, 10
	s_mov_b32 m0, s0
	s_sendmsg sendmsg(MSG_INTERRUPT)
	s_mov_b32 m0, ttmp2
.LBB6_416:                              ; =>This Inner Loop Header: Depth=1
	s_sethalt 5
	s_branch .LBB6_416
.LBB6_417:
	s_trap 2
	s_sendmsg_rtn_b32 s0, sendmsg(MSG_RTN_GET_DOORBELL)
	s_mov_b32 ttmp2, m0
	s_waitcnt lgkmcnt(0)
	s_and_b32 s0, s0, 0x3ff
	s_delay_alu instid0(SALU_CYCLE_1) | instskip(NEXT) | instid1(SALU_CYCLE_1)
	s_bitset1_b32 s0, 10
	s_mov_b32 m0, s0
	s_sendmsg sendmsg(MSG_INTERRUPT)
	s_mov_b32 m0, ttmp2
.LBB6_418:                              ; =>This Inner Loop Header: Depth=1
	s_sethalt 5
	s_branch .LBB6_418
.LBB6_419:
	s_trap 2
	s_sendmsg_rtn_b32 s0, sendmsg(MSG_RTN_GET_DOORBELL)
	s_mov_b32 ttmp2, m0
	s_waitcnt lgkmcnt(0)
	s_and_b32 s0, s0, 0x3ff
	s_delay_alu instid0(SALU_CYCLE_1) | instskip(NEXT) | instid1(SALU_CYCLE_1)
	s_bitset1_b32 s0, 10
	s_mov_b32 m0, s0
	s_sendmsg sendmsg(MSG_INTERRUPT)
	s_mov_b32 m0, ttmp2
.LBB6_420:                              ; =>This Inner Loop Header: Depth=1
	s_sethalt 5
	s_branch .LBB6_420
.LBB6_421:
	s_trap 2
	s_sendmsg_rtn_b32 s0, sendmsg(MSG_RTN_GET_DOORBELL)
	s_mov_b32 ttmp2, m0
	s_waitcnt lgkmcnt(0)
	s_and_b32 s0, s0, 0x3ff
	s_delay_alu instid0(SALU_CYCLE_1) | instskip(NEXT) | instid1(SALU_CYCLE_1)
	s_bitset1_b32 s0, 10
	s_mov_b32 m0, s0
	s_sendmsg sendmsg(MSG_INTERRUPT)
	s_mov_b32 m0, ttmp2
.LBB6_422:                              ; =>This Inner Loop Header: Depth=1
	s_sethalt 5
	s_branch .LBB6_422
.LBB6_423:
	s_trap 2
	s_sendmsg_rtn_b32 s0, sendmsg(MSG_RTN_GET_DOORBELL)
	s_mov_b32 ttmp2, m0
	s_waitcnt lgkmcnt(0)
	s_and_b32 s0, s0, 0x3ff
	s_delay_alu instid0(SALU_CYCLE_1) | instskip(NEXT) | instid1(SALU_CYCLE_1)
	s_bitset1_b32 s0, 10
	s_mov_b32 m0, s0
	s_sendmsg sendmsg(MSG_INTERRUPT)
	s_mov_b32 m0, ttmp2
.LBB6_424:                              ; =>This Inner Loop Header: Depth=1
	s_sethalt 5
	s_branch .LBB6_424
.LBB6_425:
	s_trap 2
	s_sendmsg_rtn_b32 s0, sendmsg(MSG_RTN_GET_DOORBELL)
	s_mov_b32 ttmp2, m0
	s_waitcnt lgkmcnt(0)
	s_and_b32 s0, s0, 0x3ff
	s_delay_alu instid0(SALU_CYCLE_1) | instskip(NEXT) | instid1(SALU_CYCLE_1)
	s_bitset1_b32 s0, 10
	s_mov_b32 m0, s0
	s_sendmsg sendmsg(MSG_INTERRUPT)
	s_mov_b32 m0, ttmp2
.LBB6_426:                              ; =>This Inner Loop Header: Depth=1
	s_sethalt 5
	s_branch .LBB6_426
.LBB6_427:
	s_trap 2
	s_sendmsg_rtn_b32 s0, sendmsg(MSG_RTN_GET_DOORBELL)
	s_mov_b32 ttmp2, m0
	s_waitcnt lgkmcnt(0)
	s_and_b32 s0, s0, 0x3ff
	s_delay_alu instid0(SALU_CYCLE_1) | instskip(NEXT) | instid1(SALU_CYCLE_1)
	s_bitset1_b32 s0, 10
	s_mov_b32 m0, s0
	s_sendmsg sendmsg(MSG_INTERRUPT)
	s_mov_b32 m0, ttmp2
.LBB6_428:                              ; =>This Inner Loop Header: Depth=1
	s_sethalt 5
	s_branch .LBB6_428
.LBB6_429:
	s_trap 2
	s_sendmsg_rtn_b32 s0, sendmsg(MSG_RTN_GET_DOORBELL)
	s_mov_b32 ttmp2, m0
	s_waitcnt lgkmcnt(0)
	s_and_b32 s0, s0, 0x3ff
	s_delay_alu instid0(SALU_CYCLE_1) | instskip(NEXT) | instid1(SALU_CYCLE_1)
	s_bitset1_b32 s0, 10
	s_mov_b32 m0, s0
	s_sendmsg sendmsg(MSG_INTERRUPT)
	s_mov_b32 m0, ttmp2
.LBB6_430:                              ; =>This Inner Loop Header: Depth=1
	s_sethalt 5
	s_branch .LBB6_430
.LBB6_431:
	s_trap 2
	s_sendmsg_rtn_b32 s0, sendmsg(MSG_RTN_GET_DOORBELL)
	s_mov_b32 ttmp2, m0
	s_waitcnt lgkmcnt(0)
	s_and_b32 s0, s0, 0x3ff
	s_delay_alu instid0(SALU_CYCLE_1) | instskip(NEXT) | instid1(SALU_CYCLE_1)
	s_bitset1_b32 s0, 10
	s_mov_b32 m0, s0
	s_sendmsg sendmsg(MSG_INTERRUPT)
	s_mov_b32 m0, ttmp2
.LBB6_432:                              ; =>This Inner Loop Header: Depth=1
	s_sethalt 5
	s_branch .LBB6_432
.LBB6_433:
	s_trap 2
	s_sendmsg_rtn_b32 s0, sendmsg(MSG_RTN_GET_DOORBELL)
	s_mov_b32 ttmp2, m0
	s_waitcnt lgkmcnt(0)
	s_and_b32 s0, s0, 0x3ff
	s_delay_alu instid0(SALU_CYCLE_1) | instskip(NEXT) | instid1(SALU_CYCLE_1)
	s_bitset1_b32 s0, 10
	s_mov_b32 m0, s0
	s_sendmsg sendmsg(MSG_INTERRUPT)
	s_mov_b32 m0, ttmp2
.LBB6_434:                              ; =>This Inner Loop Header: Depth=1
	s_sethalt 5
	s_branch .LBB6_434
.LBB6_435:
	s_trap 2
	s_sendmsg_rtn_b32 s0, sendmsg(MSG_RTN_GET_DOORBELL)
	s_mov_b32 ttmp2, m0
	s_waitcnt lgkmcnt(0)
	s_and_b32 s0, s0, 0x3ff
	s_delay_alu instid0(SALU_CYCLE_1) | instskip(NEXT) | instid1(SALU_CYCLE_1)
	s_bitset1_b32 s0, 10
	s_mov_b32 m0, s0
	s_sendmsg sendmsg(MSG_INTERRUPT)
	s_mov_b32 m0, ttmp2
.LBB6_436:                              ; =>This Inner Loop Header: Depth=1
	s_sethalt 5
	s_branch .LBB6_436
.LBB6_437:
	s_trap 2
	s_sendmsg_rtn_b32 s0, sendmsg(MSG_RTN_GET_DOORBELL)
	s_mov_b32 ttmp2, m0
	s_waitcnt lgkmcnt(0)
	s_and_b32 s0, s0, 0x3ff
	s_delay_alu instid0(SALU_CYCLE_1) | instskip(NEXT) | instid1(SALU_CYCLE_1)
	s_bitset1_b32 s0, 10
	s_mov_b32 m0, s0
	s_sendmsg sendmsg(MSG_INTERRUPT)
	s_mov_b32 m0, ttmp2
.LBB6_438:                              ; =>This Inner Loop Header: Depth=1
	s_sethalt 5
	s_branch .LBB6_438
.LBB6_439:
	s_trap 2
	s_sendmsg_rtn_b32 s0, sendmsg(MSG_RTN_GET_DOORBELL)
	s_mov_b32 ttmp2, m0
	s_waitcnt lgkmcnt(0)
	s_and_b32 s0, s0, 0x3ff
	s_delay_alu instid0(SALU_CYCLE_1) | instskip(NEXT) | instid1(SALU_CYCLE_1)
	s_bitset1_b32 s0, 10
	s_mov_b32 m0, s0
	s_sendmsg sendmsg(MSG_INTERRUPT)
	s_mov_b32 m0, ttmp2
.LBB6_440:                              ; =>This Inner Loop Header: Depth=1
	s_sethalt 5
	s_branch .LBB6_440
.LBB6_441:
	s_trap 2
	s_sendmsg_rtn_b32 s0, sendmsg(MSG_RTN_GET_DOORBELL)
	s_mov_b32 ttmp2, m0
	s_waitcnt lgkmcnt(0)
	s_and_b32 s0, s0, 0x3ff
	s_delay_alu instid0(SALU_CYCLE_1) | instskip(NEXT) | instid1(SALU_CYCLE_1)
	s_bitset1_b32 s0, 10
	s_mov_b32 m0, s0
	s_sendmsg sendmsg(MSG_INTERRUPT)
	s_mov_b32 m0, ttmp2
.LBB6_442:                              ; =>This Inner Loop Header: Depth=1
	s_sethalt 5
	s_branch .LBB6_442
.LBB6_443:
	s_trap 2
	s_sendmsg_rtn_b32 s0, sendmsg(MSG_RTN_GET_DOORBELL)
	s_mov_b32 ttmp2, m0
	s_waitcnt lgkmcnt(0)
	s_and_b32 s0, s0, 0x3ff
	s_delay_alu instid0(SALU_CYCLE_1) | instskip(NEXT) | instid1(SALU_CYCLE_1)
	s_bitset1_b32 s0, 10
	s_mov_b32 m0, s0
	s_sendmsg sendmsg(MSG_INTERRUPT)
	s_mov_b32 m0, ttmp2
.LBB6_444:                              ; =>This Inner Loop Header: Depth=1
	s_sethalt 5
	s_branch .LBB6_444
.LBB6_445:
	s_trap 2
	s_sendmsg_rtn_b32 s0, sendmsg(MSG_RTN_GET_DOORBELL)
	s_mov_b32 ttmp2, m0
	s_waitcnt lgkmcnt(0)
	s_and_b32 s0, s0, 0x3ff
	s_delay_alu instid0(SALU_CYCLE_1) | instskip(NEXT) | instid1(SALU_CYCLE_1)
	s_bitset1_b32 s0, 10
	s_mov_b32 m0, s0
	s_sendmsg sendmsg(MSG_INTERRUPT)
	s_mov_b32 m0, ttmp2
.LBB6_446:                              ; =>This Inner Loop Header: Depth=1
	s_sethalt 5
	s_branch .LBB6_446
.LBB6_447:
	s_trap 2
	s_sendmsg_rtn_b32 s0, sendmsg(MSG_RTN_GET_DOORBELL)
	s_mov_b32 ttmp2, m0
	s_waitcnt lgkmcnt(0)
	s_and_b32 s0, s0, 0x3ff
	s_delay_alu instid0(SALU_CYCLE_1) | instskip(NEXT) | instid1(SALU_CYCLE_1)
	s_bitset1_b32 s0, 10
	s_mov_b32 m0, s0
	s_sendmsg sendmsg(MSG_INTERRUPT)
	s_mov_b32 m0, ttmp2
.LBB6_448:                              ; =>This Inner Loop Header: Depth=1
	s_sethalt 5
	s_branch .LBB6_448
.LBB6_449:
	s_trap 2
	s_sendmsg_rtn_b32 s0, sendmsg(MSG_RTN_GET_DOORBELL)
	s_mov_b32 ttmp2, m0
	s_waitcnt lgkmcnt(0)
	s_and_b32 s0, s0, 0x3ff
	s_delay_alu instid0(SALU_CYCLE_1) | instskip(NEXT) | instid1(SALU_CYCLE_1)
	s_bitset1_b32 s0, 10
	s_mov_b32 m0, s0
	s_sendmsg sendmsg(MSG_INTERRUPT)
	s_mov_b32 m0, ttmp2
.LBB6_450:                              ; =>This Inner Loop Header: Depth=1
	s_sethalt 5
	s_branch .LBB6_450
.LBB6_451:
	s_trap 2
	s_sendmsg_rtn_b32 s0, sendmsg(MSG_RTN_GET_DOORBELL)
	s_mov_b32 ttmp2, m0
	s_waitcnt lgkmcnt(0)
	s_and_b32 s0, s0, 0x3ff
	s_delay_alu instid0(SALU_CYCLE_1) | instskip(NEXT) | instid1(SALU_CYCLE_1)
	s_bitset1_b32 s0, 10
	s_mov_b32 m0, s0
	s_sendmsg sendmsg(MSG_INTERRUPT)
	s_mov_b32 m0, ttmp2
.LBB6_452:                              ; =>This Inner Loop Header: Depth=1
	s_sethalt 5
	s_branch .LBB6_452
.LBB6_453:
	s_trap 2
	s_sendmsg_rtn_b32 s0, sendmsg(MSG_RTN_GET_DOORBELL)
	s_mov_b32 ttmp2, m0
	s_waitcnt lgkmcnt(0)
	s_and_b32 s0, s0, 0x3ff
	s_delay_alu instid0(SALU_CYCLE_1) | instskip(NEXT) | instid1(SALU_CYCLE_1)
	s_bitset1_b32 s0, 10
	s_mov_b32 m0, s0
	s_sendmsg sendmsg(MSG_INTERRUPT)
	s_mov_b32 m0, ttmp2
.LBB6_454:                              ; =>This Inner Loop Header: Depth=1
	s_sethalt 5
	s_branch .LBB6_454
.LBB6_455:
	s_or_b32 exec_lo, exec_lo, s4
	s_and_saveexec_b32 s4, s5
	s_delay_alu instid0(SALU_CYCLE_1)
	s_xor_b32 s4, exec_lo, s4
	s_cbranch_execz .LBB6_457
; %bb.456:
	v_mov_b32_e32 v0, 1
	ds_store_b32 v0, v0
	s_cbranch_execnz .LBB6_463
.LBB6_457:
	s_or_b32 exec_lo, exec_lo, s3
	;;#ASMSTART
	s_wakeup
	;;#ASMEND
.LBB6_458:
	s_or_b32 exec_lo, exec_lo, s2
.LBB6_459:
	s_and_not1_saveexec_b32 s1, s1
	s_cbranch_execz .LBB6_461
; %bb.460:
	s_waitcnt vmcnt(0) lgkmcnt(0)
	s_waitcnt_vscnt null, 0x0
	buffer_gl1_inv
	buffer_gl0_inv
	s_barrier
.LBB6_461:
	s_or_b32 exec_lo, exec_lo, s0
.LBB6_462:
	s_delay_alu instid0(SALU_CYCLE_1)
	s_or_b32 exec_lo, exec_lo, s11
	s_waitcnt vmcnt(0) lgkmcnt(0)
	s_setpc_b64 s[30:31]
.LBB6_463:
	s_trap 2
	s_sendmsg_rtn_b32 s0, sendmsg(MSG_RTN_GET_DOORBELL)
	s_mov_b32 ttmp2, m0
	s_waitcnt lgkmcnt(0)
	s_and_b32 s0, s0, 0x3ff
	s_delay_alu instid0(SALU_CYCLE_1) | instskip(NEXT) | instid1(SALU_CYCLE_1)
	s_bitset1_b32 s0, 10
	s_mov_b32 m0, s0
	s_sendmsg sendmsg(MSG_INTERRUPT)
	s_mov_b32 m0, ttmp2
.LBB6_464:                              ; =>This Inner Loop Header: Depth=1
	s_sethalt 5
	s_branch .LBB6_464
.LBB6_465:
	s_trap 2
	s_sendmsg_rtn_b32 s0, sendmsg(MSG_RTN_GET_DOORBELL)
	s_mov_b32 ttmp2, m0
	s_waitcnt lgkmcnt(0)
	s_and_b32 s0, s0, 0x3ff
	s_delay_alu instid0(SALU_CYCLE_1) | instskip(NEXT) | instid1(SALU_CYCLE_1)
	s_bitset1_b32 s0, 10
	s_mov_b32 m0, s0
	s_sendmsg sendmsg(MSG_INTERRUPT)
	s_mov_b32 m0, ttmp2
.LBB6_466:                              ; =>This Inner Loop Header: Depth=1
	s_sethalt 5
	s_branch .LBB6_466
.LBB6_467:
	s_trap 2
	s_sendmsg_rtn_b32 s0, sendmsg(MSG_RTN_GET_DOORBELL)
	s_mov_b32 ttmp2, m0
	s_waitcnt lgkmcnt(0)
	s_and_b32 s0, s0, 0x3ff
	s_delay_alu instid0(SALU_CYCLE_1) | instskip(NEXT) | instid1(SALU_CYCLE_1)
	s_bitset1_b32 s0, 10
	s_mov_b32 m0, s0
	s_sendmsg sendmsg(MSG_INTERRUPT)
	s_mov_b32 m0, ttmp2
.LBB6_468:                              ; =>This Inner Loop Header: Depth=1
	s_sethalt 5
	s_branch .LBB6_468
.LBB6_469:
	s_trap 2
	s_sendmsg_rtn_b32 s0, sendmsg(MSG_RTN_GET_DOORBELL)
	s_mov_b32 ttmp2, m0
	s_waitcnt lgkmcnt(0)
	s_and_b32 s0, s0, 0x3ff
	s_delay_alu instid0(SALU_CYCLE_1) | instskip(NEXT) | instid1(SALU_CYCLE_1)
	s_bitset1_b32 s0, 10
	s_mov_b32 m0, s0
	s_sendmsg sendmsg(MSG_INTERRUPT)
	s_mov_b32 m0, ttmp2
.LBB6_470:                              ; =>This Inner Loop Header: Depth=1
	s_sethalt 5
	s_branch .LBB6_470
.LBB6_471:
	s_trap 2
	s_sendmsg_rtn_b32 s0, sendmsg(MSG_RTN_GET_DOORBELL)
	s_mov_b32 ttmp2, m0
	s_waitcnt lgkmcnt(0)
	s_and_b32 s0, s0, 0x3ff
	s_delay_alu instid0(SALU_CYCLE_1) | instskip(NEXT) | instid1(SALU_CYCLE_1)
	s_bitset1_b32 s0, 10
	s_mov_b32 m0, s0
	s_sendmsg sendmsg(MSG_INTERRUPT)
	s_mov_b32 m0, ttmp2
.LBB6_472:                              ; =>This Inner Loop Header: Depth=1
	s_sethalt 5
	s_branch .LBB6_472
.LBB6_473:
	s_trap 2
	s_sendmsg_rtn_b32 s0, sendmsg(MSG_RTN_GET_DOORBELL)
	s_mov_b32 ttmp2, m0
	s_waitcnt lgkmcnt(0)
	s_and_b32 s0, s0, 0x3ff
	s_delay_alu instid0(SALU_CYCLE_1) | instskip(NEXT) | instid1(SALU_CYCLE_1)
	s_bitset1_b32 s0, 10
	s_mov_b32 m0, s0
	s_sendmsg sendmsg(MSG_INTERRUPT)
	s_mov_b32 m0, ttmp2
.LBB6_474:                              ; =>This Inner Loop Header: Depth=1
	s_sethalt 5
	s_branch .LBB6_474
.Lfunc_end6:
	.size	_ZN12_GLOBAL__N_17runRingIa7FuncSumIaE7ProtoLLLi0ELi2ELi0EEEviiP15ncclDevWorkColl, .Lfunc_end6-_ZN12_GLOBAL__N_17runRingIa7FuncSumIaE7ProtoLLLi0ELi2ELi0EEEviiP15ncclDevWorkColl
                                        ; -- End function
	.section	.AMDGPU.csdata,"",@progbits
; Function info:
; codeLenInByte = 14168
; NumSgprs: 34
; NumVgprs: 134
; ScratchSize: 0
; MemoryBound: 1
	.text
	.p2align	2                               ; -- Begin function _Z42ncclDevFunc_Broadcast_RING_LL_Sum_i8_0_0_2v
	.type	_Z42ncclDevFunc_Broadcast_RING_LL_Sum_i8_0_0_2v,@function
_Z42ncclDevFunc_Broadcast_RING_LL_Sum_i8_0_0_2v: ; @_Z42ncclDevFunc_Broadcast_RING_LL_Sum_i8_0_0_2v
; %bb.0:
	s_waitcnt vmcnt(0) expcnt(0) lgkmcnt(0)
	s_mov_b32 s0, s33
	s_mov_b32 s33, s32
	s_or_saveexec_b32 s1, -1
	scratch_store_b32 off, v40, s33         ; 4-byte Folded Spill
	s_mov_b32 exec_lo, s1
	v_writelane_b32 v40, s0, 6
	s_add_i32 s32, s32, 16
	v_writelane_b32 v40, s34, 0
	v_writelane_b32 v40, s35, 1
	v_writelane_b32 v40, s36, 2
	v_writelane_b32 v40, s37, 3
	v_writelane_b32 v40, s30, 4
	v_writelane_b32 v40, s31, 5
	s_cbranch_execnz .LBB7_13
; %bb.1:
	ds_load_b32 v0, v0
	s_waitcnt lgkmcnt(0)
	v_cmp_gt_i32_e32 vcc_lo, 1, v0
	s_cbranch_vccnz .LBB7_12
; %bb.2:
	v_and_b32_e32 v134, 0x3ff, v31
	s_mov_b32 s36, 0
	s_mov_b64 s[34:35], src_shared_base
.LBB7_3:                                ; =>This Inner Loop Header: Depth=1
	s_cbranch_execnz .LBB7_15
; %bb.4:                                ;   in Loop: Header=BB7_3 Depth=1
	ds_load_b32 v0, v0
	s_cmp_eq_u32 s36, 0
	s_cbranch_scc1 .LBB7_8
; %bb.5:                                ;   in Loop: Header=BB7_3 Depth=1
	s_cbranch_execnz .LBB7_19
; %bb.6:                                ;   in Loop: Header=BB7_3 Depth=1
	s_waitcnt lgkmcnt(0)
	ds_load_b32 v1, v0
	s_waitcnt lgkmcnt(0)
	v_xor_b32_e32 v1, v1, v0
	s_delay_alu instid0(VALU_DEP_1) | instskip(NEXT) | instid1(VALU_DEP_1)
	v_and_b32_e32 v1, 0xff0000, v1
	v_cmp_eq_u32_e32 vcc_lo, 0, v1
	s_cbranch_vccnz .LBB7_8
; %bb.7:                                ;   in Loop: Header=BB7_3 Depth=1
	s_waitcnt_vscnt null, 0x0
	s_barrier
	buffer_gl0_inv
	ds_load_b32 v0, v0
.LBB7_8:                                ;   in Loop: Header=BB7_3 Depth=1
	s_waitcnt lgkmcnt(0)
	v_lshrrev_b32_e32 v0, 11, v0
	s_mov_b32 s37, exec_lo
	s_delay_alu instid0(VALU_DEP_1) | instskip(NEXT) | instid1(VALU_DEP_1)
	v_and_b32_e32 v1, 0x1fe0, v0
	v_cmpx_lt_u32_e64 v134, v1
	s_cbranch_execz .LBB7_10
; %bb.9:                                ;   in Loop: Header=BB7_3 Depth=1
	v_dual_mov_b32 v135, v31 :: v_dual_mov_b32 v0, v134
	v_mov_b32_e32 v3, s35
	s_getpc_b64 s[0:1]
	s_add_u32 s0, s0, _ZN12_GLOBAL__N_17runRingIa7FuncSumIaE7ProtoLLLi0ELi2ELi0EEEviiP15ncclDevWorkColl@rel32@lo+4
	s_addc_u32 s1, s1, _ZN12_GLOBAL__N_17runRingIa7FuncSumIaE7ProtoLLLi0ELi2ELi0EEEviiP15ncclDevWorkColl@rel32@hi+12
	s_mov_b64 s[28:29], s[8:9]
	s_mov_b32 s34, s12
	s_swappc_b64 s[30:31], s[0:1]
	v_mov_b32_e32 v31, v135
	s_mov_b32 s12, s34
	s_mov_b64 s[8:9], s[28:29]
.LBB7_10:                               ;   in Loop: Header=BB7_3 Depth=1
	s_or_b32 exec_lo, exec_lo, s37
	s_cbranch_execnz .LBB7_17
; %bb.11:                               ;   in Loop: Header=BB7_3 Depth=1
	ds_load_b32 v0, v0
	s_add_i32 s36, s36, 1
	s_waitcnt lgkmcnt(0)
	v_cmp_lt_i32_e32 vcc_lo, s36, v0
	s_cbranch_vccnz .LBB7_3
.LBB7_12:
	v_readlane_b32 s30, v40, 4
	v_readlane_b32 s31, v40, 5
	;; [unrolled: 1-line block ×7, first 2 shown]
	s_or_saveexec_b32 s1, -1
	scratch_load_b32 v40, off, s33          ; 4-byte Folded Reload
	s_mov_b32 exec_lo, s1
	s_add_i32 s32, s32, -16
	s_mov_b32 s33, s0
	s_waitcnt vmcnt(0)
	s_setpc_b64 s[30:31]
.LBB7_13:
	s_trap 2
	s_sendmsg_rtn_b32 s0, sendmsg(MSG_RTN_GET_DOORBELL)
	s_mov_b32 ttmp2, m0
	s_waitcnt lgkmcnt(0)
	s_and_b32 s0, s0, 0x3ff
	s_delay_alu instid0(SALU_CYCLE_1) | instskip(NEXT) | instid1(SALU_CYCLE_1)
	s_bitset1_b32 s0, 10
	s_mov_b32 m0, s0
	s_sendmsg sendmsg(MSG_INTERRUPT)
	s_mov_b32 m0, ttmp2
.LBB7_14:                               ; =>This Inner Loop Header: Depth=1
	s_sethalt 5
	s_branch .LBB7_14
.LBB7_15:
	s_trap 2
	s_sendmsg_rtn_b32 s0, sendmsg(MSG_RTN_GET_DOORBELL)
	s_mov_b32 ttmp2, m0
	s_waitcnt lgkmcnt(0)
	s_and_b32 s0, s0, 0x3ff
	s_delay_alu instid0(SALU_CYCLE_1) | instskip(NEXT) | instid1(SALU_CYCLE_1)
	s_bitset1_b32 s0, 10
	s_mov_b32 m0, s0
	s_sendmsg sendmsg(MSG_INTERRUPT)
	s_mov_b32 m0, ttmp2
.LBB7_16:                               ; =>This Inner Loop Header: Depth=1
	s_sethalt 5
	s_branch .LBB7_16
.LBB7_17:
	s_trap 2
	s_sendmsg_rtn_b32 s0, sendmsg(MSG_RTN_GET_DOORBELL)
	s_mov_b32 ttmp2, m0
	s_waitcnt lgkmcnt(0)
	s_and_b32 s0, s0, 0x3ff
	s_delay_alu instid0(SALU_CYCLE_1) | instskip(NEXT) | instid1(SALU_CYCLE_1)
	s_bitset1_b32 s0, 10
	s_mov_b32 m0, s0
	s_sendmsg sendmsg(MSG_INTERRUPT)
	s_mov_b32 m0, ttmp2
.LBB7_18:                               ; =>This Inner Loop Header: Depth=1
	s_sethalt 5
	s_branch .LBB7_18
.LBB7_19:
	s_trap 2
	s_sendmsg_rtn_b32 s0, sendmsg(MSG_RTN_GET_DOORBELL)
	s_mov_b32 ttmp2, m0
	s_waitcnt lgkmcnt(0)
	s_and_b32 s0, s0, 0x3ff
	s_delay_alu instid0(SALU_CYCLE_1) | instskip(NEXT) | instid1(SALU_CYCLE_1)
	s_bitset1_b32 s0, 10
	s_mov_b32 m0, s0
	s_sendmsg sendmsg(MSG_INTERRUPT)
	s_mov_b32 m0, ttmp2
.LBB7_20:                               ; =>This Inner Loop Header: Depth=1
	s_sethalt 5
	s_branch .LBB7_20
.Lfunc_end7:
	.size	_Z42ncclDevFunc_Broadcast_RING_LL_Sum_i8_0_0_2v, .Lfunc_end7-_Z42ncclDevFunc_Broadcast_RING_LL_Sum_i8_0_0_2v
                                        ; -- End function
	.section	.AMDGPU.csdata,"",@progbits
; Function info:
; codeLenInByte = 636
; NumSgprs: 40
; NumVgprs: 136
; ScratchSize: 16
; MemoryBound: 0
	.text
	.p2align	2                               ; -- Begin function _ZN12_GLOBAL__N_17runRingIa7FuncSumIaE11ProtoSimpleILi1ELi1ELi0ELi2ELi0ELi0EELi0ELi2ELi0EEEviiP15ncclDevWorkColl
	.type	_ZN12_GLOBAL__N_17runRingIa7FuncSumIaE11ProtoSimpleILi1ELi1ELi0ELi2ELi0ELi0EELi0ELi2ELi0EEEviiP15ncclDevWorkColl,@function
_ZN12_GLOBAL__N_17runRingIa7FuncSumIaE11ProtoSimpleILi1ELi1ELi0ELi2ELi0ELi0EELi0ELi2ELi0EEEviiP15ncclDevWorkColl: ; @_ZN12_GLOBAL__N_17runRingIa7FuncSumIaE11ProtoSimpleILi1ELi1ELi0ELi2ELi0ELi0EELi0ELi2ELi0EEEviiP15ncclDevWorkColl
; %bb.0:
	s_waitcnt vmcnt(0) expcnt(0) lgkmcnt(0)
	s_mov_b32 s0, s33
	s_mov_b32 s33, s32
	s_or_saveexec_b32 s1, -1
	s_clause 0x1
	scratch_store_b32 off, v41, s33 offset:4
	; meta instruction
	scratch_store_b32 off, v42, s33 offset:8
	s_mov_b32 exec_lo, s1
	v_writelane_b32 v41, s0, 9
	s_add_i32 s32, s32, 16
	scratch_store_b32 off, v40, s33         ; 4-byte Folded Spill
	v_writelane_b32 v41, s34, 0
	v_writelane_b32 v41, s35, 1
	;; [unrolled: 1-line block ×9, first 2 shown]
	s_cbranch_execnz .LBB8_15
; %bb.1:
	ds_load_b64 v[4:5], v0
	s_clause 0x1
	flat_load_b64 v[16:17], v[2:3]
	flat_load_u16 v9, v[2:3] offset:8
	ds_load_b32 v6, v0
	s_mov_b32 s0, exec_lo
                                        ; implicit-def: $vgpr34_vgpr35
                                        ; implicit-def: $vgpr14_vgpr15
	s_waitcnt lgkmcnt(3)
	flat_load_b64 v[32:33], v[4:5]
                                        ; implicit-def: $vgpr4_vgpr5
	s_waitcnt vmcnt(2) lgkmcnt(3)
	v_dual_mov_b32 v8, v17 :: v_dual_and_b32 v7, 0xff, v16
	s_waitcnt lgkmcnt(1)
	s_delay_alu instid0(VALU_DEP_1)
	v_cmpx_ne_u32_e64 v7, v6
	s_xor_b32 s0, exec_lo, s0
	s_cbranch_execz .LBB8_7
; %bb.2:
	v_bfe_u32 v11, v16, 8, 8
	v_not_b32_e32 v10, v7
	s_mov_b32 s1, exec_lo
                                        ; implicit-def: $vgpr34_vgpr35
                                        ; implicit-def: $vgpr4_vgpr5
                                        ; implicit-def: $vgpr14_vgpr15
	s_delay_alu instid0(VALU_DEP_2)
	v_cmpx_ne_u32_e64 v11, v6
	s_xor_b32 s1, exec_lo, s1
	s_cbranch_execz .LBB8_4
; %bb.3:
	s_clause 0x1
	flat_load_b128 v[17:20], v[2:3] offset:72
	flat_load_b64 v[4:5], v[2:3] offset:96
	v_add_nc_u32_e32 v6, v6, v10
                                        ; implicit-def: $vgpr11
                                        ; implicit-def: $vgpr10
	s_waitcnt vmcnt(0) lgkmcnt(0)
	v_lshrrev_b64 v[34:35], 21, v[4:5]
	v_dual_mov_b32 v4, v19 :: v_dual_mov_b32 v5, v20
	s_delay_alu instid0(VALU_DEP_3) | instskip(SKIP_2) | instid1(VALU_DEP_3)
	v_ashrrev_i32_e32 v7, 31, v6
	v_mad_u64_u32 v[14:15], null, v19, v6, v[17:18]
	v_mul_lo_u32 v6, v20, v6
	v_mul_lo_u32 v7, v19, v7
	s_delay_alu instid0(VALU_DEP_1)
	v_add3_u32 v15, v6, v15, v7
.LBB8_4:
	s_and_not1_saveexec_b32 s1, s1
	s_cbranch_execz .LBB8_6
; %bb.5:
	s_clause 0x1
	flat_load_b128 v[17:20], v[2:3] offset:72
	flat_load_b128 v[4:7], v[2:3] offset:88
	s_waitcnt vmcnt(0) lgkmcnt(0)
	v_add_nc_u32_e32 v6, v11, v10
	s_delay_alu instid0(VALU_DEP_1) | instskip(NEXT) | instid1(VALU_DEP_1)
	v_ashrrev_i32_e32 v10, 31, v6
	v_mul_lo_u32 v10, v19, v10
	v_mad_u64_u32 v[14:15], null, v19, v6, v[17:18]
	v_mul_lo_u32 v6, v20, v6
	v_lshrrev_b32_e32 v34, 10, v7
	s_delay_alu instid0(VALU_DEP_2)
	v_add3_u32 v15, v6, v15, v10
.LBB8_6:
	s_or_b32 exec_lo, exec_lo, s1
.LBB8_7:
	s_and_not1_saveexec_b32 s0, s0
; %bb.8:
	s_clause 0x1
	flat_load_b64 v[4:5], v[2:3] offset:72
	flat_load_b64 v[34:35], v[2:3] offset:96
	v_mov_b32_e32 v14, 0
	v_mov_b32_e32 v15, 0
; %bb.9:
	s_or_b32 exec_lo, exec_lo, s0
	flat_load_b128 v[10:13], v[2:3] offset:16
	v_and_b32_e32 v6, 0x44000000, v16
	v_bfe_u32 v37, v8, 1, 30
	s_mov_b32 s0, exec_lo
	s_delay_alu instid0(VALU_DEP_2) | instskip(NEXT) | instid1(VALU_DEP_1)
	v_cmp_eq_u32_e64 s14, 0x44000000, v6
	v_cndmask_b32_e64 v30, v1, 32, s14
	s_delay_alu instid0(VALU_DEP_1)
	v_cmpx_ge_i32_e64 v0, v30
	s_xor_b32 s1, exec_lo, s0
	s_cbranch_execz .LBB8_43
; %bb.10:
	s_waitcnt vmcnt(0) lgkmcnt(0)
	v_cmp_ne_u64_e32 vcc_lo, v[12:13], v[10:11]
	v_cmp_eq_u32_e64 s0, v32, v37
	s_delay_alu instid0(VALU_DEP_1) | instskip(NEXT) | instid1(SALU_CYCLE_1)
	s_and_b32 s0, vcc_lo, s0
	s_and_saveexec_b32 s2, s0
	s_cbranch_execz .LBB8_42
; %bb.11:
	v_sub_nc_u32_e32 v8, v0, v30
	v_add_co_u32 v2, vcc_lo, v12, v14
	v_add_co_ci_u32_e32 v3, vcc_lo, v13, v15, vcc_lo
	s_delay_alu instid0(VALU_DEP_3) | instskip(SKIP_2) | instid1(VALU_DEP_2)
	v_ashrrev_i32_e32 v0, 31, v8
	s_mov_b32 s0, exec_lo
	v_mov_b32_e32 v7, 0
	v_lshrrev_b32_e32 v0, 27, v0
	s_delay_alu instid0(VALU_DEP_1) | instskip(NEXT) | instid1(VALU_DEP_1)
	v_add_nc_u32_e32 v0, v8, v0
	v_and_b32_e32 v6, 0xffffffe0, v0
	s_delay_alu instid0(VALU_DEP_1) | instskip(SKIP_2) | instid1(VALU_DEP_3)
	v_sub_nc_u32_e32 v19, v8, v6
	v_add_co_u32 v6, vcc_lo, v10, v14
	v_add_co_ci_u32_e32 v16, vcc_lo, v11, v15, vcc_lo
	v_cmpx_gt_i32_e32 1, v19
; %bb.12:
	s_delay_alu instid0(VALU_DEP_3) | instskip(NEXT) | instid1(VALU_DEP_1)
	v_or_b32_e32 v7, v2, v6
	v_and_b32_e32 v7, 15, v7
	s_delay_alu instid0(VALU_DEP_1)
	v_cmp_ne_u32_e32 vcc_lo, 0, v7
	v_cndmask_b32_e64 v7, 0, 1, vcc_lo
; %bb.13:
	s_or_b32 exec_lo, exec_lo, s0
	;;#ASMSTART
	;;#ASMEND
	s_delay_alu instid0(VALU_DEP_1)
	v_cmp_ne_u32_e32 vcc_lo, 0, v7
	v_ashrrev_i32_e32 v9, 5, v0
	v_sub_nc_u32_e32 v18, v1, v30
	s_cbranch_vccz .LBB8_17
; %bb.14:
	v_mov_b32_e32 v0, 0
	v_mov_b32_e32 v1, 0
	s_mov_b32 s0, -1
	s_delay_alu instid0(SALU_CYCLE_1)
	s_and_b32 exec_lo, exec_lo, s0
	s_cbranch_execnz .LBB8_34
	s_branch .LBB8_42
.LBB8_15:
	s_trap 2
	s_sendmsg_rtn_b32 s0, sendmsg(MSG_RTN_GET_DOORBELL)
	s_mov_b32 ttmp2, m0
	s_waitcnt lgkmcnt(0)
	s_and_b32 s0, s0, 0x3ff
	s_delay_alu instid0(SALU_CYCLE_1) | instskip(NEXT) | instid1(SALU_CYCLE_1)
	s_bitset1_b32 s0, 10
	s_mov_b32 m0, s0
	s_sendmsg sendmsg(MSG_INTERRUPT)
	s_mov_b32 m0, ttmp2
.LBB8_16:                               ; =>This Inner Loop Header: Depth=1
	s_sethalt 5
	s_branch .LBB8_16
.LBB8_17:
	v_ashrrev_i32_e32 v0, 31, v5
	s_delay_alu instid0(VALU_DEP_3) | instskip(SKIP_1) | instid1(VALU_DEP_2)
	v_ashrrev_i32_e32 v8, 31, v9
	s_mov_b32 s3, exec_lo
	v_lshrrev_b32_e32 v0, 21, v0
	s_delay_alu instid0(VALU_DEP_1) | instskip(SKIP_1) | instid1(VALU_DEP_1)
	v_add_co_u32 v0, vcc_lo, v4, v0
	v_add_co_ci_u32_e32 v1, vcc_lo, 0, v5, vcc_lo
	v_ashrrev_i64 v[0:1], 11, v[0:1]
	s_delay_alu instid0(VALU_DEP_1) | instskip(NEXT) | instid1(VALU_DEP_2)
	v_sub_co_u32 v7, vcc_lo, v0, v9
	v_sub_co_ci_u32_e32 v8, vcc_lo, v1, v8, vcc_lo
	s_delay_alu instid0(VALU_DEP_1)
	v_cmpx_lt_i64_e32 0, v[7:8]
	s_cbranch_execz .LBB8_21
; %bb.18:
	v_ashrrev_i32_e32 v17, 31, v18
	v_lshlrev_b32_e32 v20, 4, v19
	s_mov_b32 s4, 0
	s_delay_alu instid0(VALU_DEP_2) | instskip(NEXT) | instid1(VALU_DEP_2)
	v_lshrrev_b32_e32 v17, 27, v17
	v_lshl_add_u32 v9, v9, 11, v20
	s_delay_alu instid0(VALU_DEP_2) | instskip(NEXT) | instid1(VALU_DEP_2)
	v_add_nc_u32_e32 v17, v18, v17
	v_ashrrev_i32_e32 v20, 31, v9
	s_delay_alu instid0(VALU_DEP_2) | instskip(NEXT) | instid1(VALU_DEP_1)
	v_ashrrev_i32_e32 v17, 5, v17
	v_lshl_add_u32 v22, v17, 11, 0xfffff800
	v_ashrrev_i32_e32 v21, 31, v17
	s_delay_alu instid0(VALU_DEP_2) | instskip(SKIP_1) | instid1(VALU_DEP_2)
	v_ashrrev_i32_e32 v23, 31, v22
	v_add_co_u32 v22, vcc_lo, 0x800, v22
	v_add_co_ci_u32_e32 v23, vcc_lo, 0, v23, vcc_lo
	s_set_inst_prefetch_distance 0x1
	.p2align	6
.LBB8_19:                               ; =>This Inner Loop Header: Depth=1
	v_add_co_u32 v36, vcc_lo, v9, v2
	v_add_co_ci_u32_e32 v37, vcc_lo, v20, v3, vcc_lo
	v_add_co_u32 v48, vcc_lo, v9, v6
	v_add_co_ci_u32_e32 v49, vcc_lo, v20, v16, vcc_lo
	s_clause 0x3
	global_load_b128 v[24:27], v[36:37], off slc dlc
	global_load_b128 v[28:31], v[36:37], off offset:512 slc dlc
	global_load_b128 v[32:35], v[36:37], off offset:1024 slc dlc
	;; [unrolled: 1-line block ×3, first 2 shown]
	v_sub_co_u32 v7, vcc_lo, v7, v17
	v_sub_co_ci_u32_e32 v8, vcc_lo, v8, v21, vcc_lo
	v_add_co_u32 v2, vcc_lo, v2, v22
	v_add_co_ci_u32_e32 v3, vcc_lo, v3, v23, vcc_lo
	s_delay_alu instid0(VALU_DEP_3) | instskip(SKIP_1) | instid1(VALU_DEP_1)
	v_cmp_gt_i64_e32 vcc_lo, 1, v[7:8]
	v_add_co_u32 v6, s0, v6, v22
	v_add_co_ci_u32_e64 v16, s0, v16, v23, s0
	s_waitcnt vmcnt(3)
	global_store_b128 v[48:49], v[24:27], off glc slc dlc
	s_waitcnt vmcnt(2)
	global_store_b128 v[48:49], v[28:31], off offset:512 glc slc dlc
	s_waitcnt vmcnt(1)
	global_store_b128 v[48:49], v[32:35], off offset:1024 glc slc dlc
	;; [unrolled: 2-line block ×3, first 2 shown]
	s_or_b32 s4, vcc_lo, s4
	s_delay_alu instid0(SALU_CYCLE_1)
	s_and_not1_b32 exec_lo, exec_lo, s4
	s_cbranch_execnz .LBB8_19
; %bb.20:
	s_set_inst_prefetch_distance 0x2
	s_or_b32 exec_lo, exec_lo, s4
.LBB8_21:
	s_delay_alu instid0(SALU_CYCLE_1)
	s_or_b32 exec_lo, exec_lo, s3
	v_lshlrev_b64 v[16:17], 11, v[0:1]
	v_mov_b32_e32 v0, 0
	v_mov_b32_e32 v1, 0
	s_mov_b32 s0, 0
	s_mov_b32 s3, exec_lo
                                        ; implicit-def: $vgpr8
                                        ; implicit-def: $vgpr9
	s_delay_alu instid0(VALU_DEP_3)
	v_cmpx_ne_u64_e64 v[4:5], v[16:17]
	s_cbranch_execz .LBB8_33
; %bb.22:
	v_sub_co_u32 v20, vcc_lo, v4, v16
	v_sub_co_ci_u32_e32 v21, vcc_lo, v5, v17, vcc_lo
	v_mov_b32_e32 v1, 0
	s_delay_alu instid0(VALU_DEP_2) | instskip(NEXT) | instid1(VALU_DEP_1)
	v_ashrrev_i32_e32 v0, 31, v21
	v_lshrrev_b32_e32 v0, 23, v0
	s_delay_alu instid0(VALU_DEP_1) | instskip(SKIP_1) | instid1(VALU_DEP_2)
	v_add_co_u32 v5, vcc_lo, v20, v0
	v_add_co_ci_u32_e32 v6, vcc_lo, 0, v21, vcc_lo
	v_and_b32_e32 v0, 0xfffffe00, v5
	s_delay_alu instid0(VALU_DEP_2) | instskip(NEXT) | instid1(VALU_DEP_2)
	v_ashrrev_i64 v[8:9], 9, v[5:6]
	v_sub_co_u32 v2, vcc_lo, v20, v0
	v_add_co_u32 v5, s0, v0, v16
	v_sub_co_ci_u32_e32 v3, vcc_lo, v21, v6, vcc_lo
	v_add_co_ci_u32_e64 v6, s0, v6, v17, s0
	s_mov_b32 s0, exec_lo
	s_delay_alu instid0(VALU_DEP_2)
	v_cmpx_lt_i64_e32 15, v[2:3]
; %bb.23:
	v_and_b32_e32 v0, 15, v4
	s_delay_alu instid0(VALU_DEP_1) | instskip(SKIP_3) | instid1(VALU_DEP_4)
	v_sub_co_u32 v2, vcc_lo, v2, v0
	v_subrev_co_ci_u32_e32 v3, vcc_lo, 0, v3, vcc_lo
	v_add_co_u32 v8, vcc_lo, v8, 1
	v_add_co_ci_u32_e32 v9, vcc_lo, 0, v9, vcc_lo
	v_add_co_u32 v5, vcc_lo, v2, v5
	s_delay_alu instid0(VALU_DEP_4)
	v_add_co_ci_u32_e32 v6, vcc_lo, v3, v6, vcc_lo
	v_dual_mov_b32 v3, v1 :: v_dual_mov_b32 v2, v0
; %bb.24:
	s_or_b32 exec_lo, exec_lo, s0
	v_lshlrev_b32_e32 v0, 5, v7
	s_mov_b32 s4, exec_lo
	s_delay_alu instid0(VALU_DEP_1) | instskip(NEXT) | instid1(VALU_DEP_1)
	v_sub_nc_u32_e32 v0, v19, v0
	v_ashrrev_i32_e32 v1, 31, v0
	s_delay_alu instid0(VALU_DEP_1) | instskip(NEXT) | instid1(VALU_DEP_1)
	v_lshrrev_b32_e32 v1, 27, v1
	v_add_nc_u32_e32 v1, v0, v1
	s_delay_alu instid0(VALU_DEP_1) | instskip(SKIP_1) | instid1(VALU_DEP_2)
	v_and_b32_e32 v4, 0xffffffe0, v1
	v_ashrrev_i32_e32 v7, 5, v1
	v_sub_nc_u32_e32 v4, v0, v4
	s_delay_alu instid0(VALU_DEP_2) | instskip(NEXT) | instid1(VALU_DEP_2)
	v_ashrrev_i32_e32 v19, 31, v7
	v_lshlrev_b32_e32 v0, 4, v4
	s_delay_alu instid0(VALU_DEP_1) | instskip(SKIP_1) | instid1(VALU_DEP_1)
	v_lshl_add_u32 v22, v7, 9, v0
	v_sub_co_u32 v7, s0, v8, v7
	v_sub_co_ci_u32_e64 v8, s0, v9, v19, s0
	s_delay_alu instid0(VALU_DEP_3) | instskip(SKIP_1) | instid1(VALU_DEP_2)
	v_ashrrev_i32_e32 v23, 31, v22
	v_sub_co_u32 v0, vcc_lo, v20, v22
	v_sub_co_ci_u32_e32 v1, vcc_lo, v21, v23, vcc_lo
	s_delay_alu instid0(VALU_DEP_1)
	v_cmpx_lt_i64_e32 15, v[0:1]
	s_cbranch_execz .LBB8_28
; %bb.25:
	v_ashrrev_i32_e32 v9, 31, v18
	v_add_co_u32 v24, vcc_lo, v14, v16
	v_add_co_ci_u32_e32 v25, vcc_lo, v15, v17, vcc_lo
	s_delay_alu instid0(VALU_DEP_3) | instskip(SKIP_1) | instid1(VALU_DEP_1)
	v_lshrrev_b32_e32 v9, 27, v9
	s_mov_b32 s5, 0
	v_add_nc_u32_e32 v9, v18, v9
	s_delay_alu instid0(VALU_DEP_1) | instskip(NEXT) | instid1(VALU_DEP_1)
	v_ashrrev_i32_e32 v9, 5, v9
	v_lshlrev_b32_e32 v19, 9, v9
	v_ashrrev_i32_e32 v16, 31, v9
	s_delay_alu instid0(VALU_DEP_2) | instskip(SKIP_1) | instid1(VALU_DEP_2)
	v_add_nc_u32_e32 v20, 0xfffffe00, v19
	v_ashrrev_i32_e32 v17, 31, v19
	v_ashrrev_i32_e32 v21, 31, v20
	v_add_co_u32 v20, vcc_lo, 0x200, v20
	s_delay_alu instid0(VALU_DEP_2)
	v_add_co_ci_u32_e32 v21, vcc_lo, 0, v21, vcc_lo
	v_add_co_u32 v22, vcc_lo, v24, v22
	v_add_co_ci_u32_e32 v23, vcc_lo, v25, v23, vcc_lo
	.p2align	6
.LBB8_26:                               ; =>This Inner Loop Header: Depth=1
	s_delay_alu instid0(VALU_DEP_2) | instskip(NEXT) | instid1(VALU_DEP_2)
	v_add_co_u32 v24, vcc_lo, v12, v22
	v_add_co_ci_u32_e32 v25, vcc_lo, v13, v23, vcc_lo
	v_add_co_u32 v28, vcc_lo, v10, v22
	v_add_co_ci_u32_e32 v29, vcc_lo, v11, v23, vcc_lo
	global_load_b128 v[24:27], v[24:25], off slc dlc
	v_sub_co_u32 v0, vcc_lo, v0, v19
	v_sub_co_ci_u32_e32 v1, vcc_lo, v1, v17, vcc_lo
	v_sub_co_u32 v7, vcc_lo, v7, v9
	v_sub_co_ci_u32_e32 v8, vcc_lo, v8, v16, vcc_lo
	s_delay_alu instid0(VALU_DEP_3) | instskip(SKIP_1) | instid1(VALU_DEP_1)
	v_cmp_gt_i64_e32 vcc_lo, 16, v[0:1]
	v_add_co_u32 v22, s0, v22, v20
	v_add_co_ci_u32_e64 v23, s0, v23, v21, s0
	s_or_b32 s5, vcc_lo, s5
	s_waitcnt vmcnt(0)
	global_store_b128 v[28:29], v[24:27], off glc slc dlc
	s_and_not1_b32 exec_lo, exec_lo, s5
	s_cbranch_execnz .LBB8_26
; %bb.27:
	s_or_b32 exec_lo, exec_lo, s5
.LBB8_28:
	s_delay_alu instid0(SALU_CYCLE_1) | instskip(NEXT) | instid1(SALU_CYCLE_1)
	s_or_b32 exec_lo, exec_lo, s4
	s_mov_b32 s0, exec_lo
	v_cmpx_lt_i64_e32 0, v[7:8]
; %bb.29:
	v_ashrrev_i32_e32 v0, 31, v18
	s_delay_alu instid0(VALU_DEP_1) | instskip(NEXT) | instid1(VALU_DEP_1)
	v_lshrrev_b32_e32 v0, 27, v0
	v_add_nc_u32_e32 v0, v18, v0
	s_delay_alu instid0(VALU_DEP_1) | instskip(NEXT) | instid1(VALU_DEP_1)
	v_ashrrev_i32_e32 v0, 5, v0
	v_sub_co_u32 v7, vcc_lo, v7, v0
; %bb.30:
	s_or_b32 exec_lo, exec_lo, s0
	v_mov_b32_e32 v0, 0
	v_mov_b32_e32 v1, 0
	s_mov_b32 s0, 0
	s_mov_b32 s4, exec_lo
                                        ; implicit-def: $vgpr8
                                        ; implicit-def: $vgpr9
	v_cmpx_ne_u64_e32 0, v[2:3]
; %bb.31:
	v_lshlrev_b32_e32 v0, 5, v7
	s_mov_b32 s0, exec_lo
	s_delay_alu instid0(VALU_DEP_1) | instskip(NEXT) | instid1(VALU_DEP_1)
	v_sub_nc_u32_e32 v8, v4, v0
	v_ashrrev_i32_e32 v0, 31, v8
	s_delay_alu instid0(VALU_DEP_1) | instskip(NEXT) | instid1(VALU_DEP_1)
	v_lshrrev_b32_e32 v0, 27, v0
	v_add_nc_u32_e32 v0, v8, v0
	s_delay_alu instid0(VALU_DEP_1)
	v_ashrrev_i32_e32 v9, 5, v0
	v_dual_mov_b32 v0, v5 :: v_dual_mov_b32 v1, v6
; %bb.32:
	s_or_b32 exec_lo, exec_lo, s4
	v_dual_mov_b32 v5, v3 :: v_dual_mov_b32 v4, v2
	s_and_b32 s0, s0, exec_lo
.LBB8_33:
	s_or_b32 exec_lo, exec_lo, s3
	s_delay_alu instid0(SALU_CYCLE_1)
	s_and_b32 exec_lo, exec_lo, s0
	s_cbranch_execz .LBB8_42
.LBB8_34:
	v_ashrrev_i32_e32 v2, 31, v5
	s_mov_b32 s0, exec_lo
	s_delay_alu instid0(VALU_DEP_1) | instskip(NEXT) | instid1(VALU_DEP_1)
	v_lshrrev_b32_e32 v2, 23, v2
	v_add_co_u32 v2, vcc_lo, v4, v2
	v_add_co_ci_u32_e32 v3, vcc_lo, 0, v5, vcc_lo
	s_delay_alu instid0(VALU_DEP_1) | instskip(SKIP_1) | instid1(VALU_DEP_2)
	v_ashrrev_i64 v[6:7], 9, v[2:3]
	v_ashrrev_i32_e32 v3, 31, v9
	v_sub_co_u32 v2, vcc_lo, v6, v9
	s_delay_alu instid0(VALU_DEP_2) | instskip(NEXT) | instid1(VALU_DEP_1)
	v_sub_co_ci_u32_e32 v3, vcc_lo, v7, v3, vcc_lo
	v_cmpx_lt_i64_e32 0, v[2:3]
	s_cbranch_execz .LBB8_38
; %bb.35:
	v_ashrrev_i32_e32 v16, 31, v8
	v_ashrrev_i32_e32 v17, 31, v18
	v_add_co_u32 v25, vcc_lo, v14, v0
	v_add_co_ci_u32_e32 v26, vcc_lo, v15, v1, vcc_lo
	s_delay_alu instid0(VALU_DEP_4) | instskip(NEXT) | instid1(VALU_DEP_4)
	v_lshrrev_b32_e32 v16, 27, v16
	v_lshrrev_b32_e32 v17, 27, v17
	s_mov_b32 s3, 0
	s_delay_alu instid0(VALU_DEP_2) | instskip(NEXT) | instid1(VALU_DEP_2)
	v_add_nc_u32_e32 v16, v8, v16
	v_add_nc_u32_e32 v17, v18, v17
	s_delay_alu instid0(VALU_DEP_2) | instskip(NEXT) | instid1(VALU_DEP_2)
	v_and_b32_e32 v19, 0xffffffe0, v16
	v_ashrrev_i32_e32 v16, 5, v17
	s_delay_alu instid0(VALU_DEP_2) | instskip(NEXT) | instid1(VALU_DEP_2)
	v_sub_nc_u32_e32 v17, v8, v19
	v_lshl_add_u32 v23, v16, 9, 0xfffffe00
	v_add_co_u32 v19, vcc_lo, v25, v12
	v_add_co_ci_u32_e32 v20, vcc_lo, v26, v13, vcc_lo
	s_delay_alu instid0(VALU_DEP_3) | instskip(SKIP_3) | instid1(VALU_DEP_4)
	v_ashrrev_i32_e32 v24, 31, v23
	v_lshl_add_u32 v17, v9, 9, v17
	v_add_co_u32 v23, vcc_lo, 0x200, v23
	v_ashrrev_i32_e32 v21, 31, v16
	v_add_co_ci_u32_e32 v24, vcc_lo, 0, v24, vcc_lo
	v_add_co_u32 v25, vcc_lo, v25, v10
	v_ashrrev_i32_e32 v22, 31, v17
	v_add_co_ci_u32_e32 v26, vcc_lo, v26, v11, vcc_lo
.LBB8_36:                               ; =>This Inner Loop Header: Depth=1
	v_add_co_u32 v27, vcc_lo, v17, v19
	s_delay_alu instid0(VALU_DEP_3)
	v_add_co_ci_u32_e32 v28, vcc_lo, v22, v20, vcc_lo
	s_clause 0xf
	flat_load_u8 v29, v[27:28] slc dlc
	flat_load_u8 v30, v[27:28] offset:32 slc dlc
	flat_load_u8 v31, v[27:28] offset:64 slc dlc
	;; [unrolled: 1-line block ×15, first 2 shown]
	v_add_co_u32 v27, vcc_lo, v17, v25
	v_add_co_ci_u32_e32 v28, vcc_lo, v22, v26, vcc_lo
	v_sub_co_u32 v2, vcc_lo, v2, v16
	v_sub_co_ci_u32_e32 v3, vcc_lo, v3, v21, vcc_lo
	v_add_co_u32 v19, vcc_lo, v19, v23
	v_add_co_ci_u32_e32 v20, vcc_lo, v20, v24, vcc_lo
	v_add_co_u32 v25, vcc_lo, v25, v23
	v_add_co_ci_u32_e32 v26, vcc_lo, v26, v24, vcc_lo
	v_cmp_gt_i64_e32 vcc_lo, 1, v[2:3]
	s_waitcnt vmcnt(15) lgkmcnt(15)
	flat_store_b8 v[27:28], v29 glc slc dlc
	s_waitcnt vmcnt(14) lgkmcnt(15)
	flat_store_b8 v[27:28], v30 offset:32 glc slc dlc
	s_waitcnt vmcnt(13) lgkmcnt(15)
	flat_store_b8 v[27:28], v31 offset:64 glc slc dlc
	;; [unrolled: 2-line block ×15, first 2 shown]
	s_or_b32 s3, vcc_lo, s3
	s_delay_alu instid0(SALU_CYCLE_1)
	s_and_not1_b32 exec_lo, exec_lo, s3
	s_cbranch_execnz .LBB8_36
; %bb.37:
	s_or_b32 exec_lo, exec_lo, s3
.LBB8_38:
	s_delay_alu instid0(SALU_CYCLE_1) | instskip(SKIP_1) | instid1(VALU_DEP_1)
	s_or_b32 exec_lo, exec_lo, s0
	v_lshlrev_b64 v[6:7], 9, v[6:7]
	v_cmp_ne_u64_e32 vcc_lo, v[4:5], v[6:7]
	s_and_b32 exec_lo, exec_lo, vcc_lo
	s_cbranch_execz .LBB8_42
; %bb.39:
	v_lshlrev_b32_e32 v3, 5, v9
	v_lshlrev_b32_e32 v2, 5, v2
	s_delay_alu instid0(VALU_DEP_2) | instskip(NEXT) | instid1(VALU_DEP_1)
	v_sub_nc_u32_e32 v3, v8, v3
	v_sub_nc_u32_e32 v8, v3, v2
	s_delay_alu instid0(VALU_DEP_1) | instskip(SKIP_1) | instid1(VALU_DEP_2)
	v_ashrrev_i32_e32 v9, 31, v8
	v_add_co_u32 v2, vcc_lo, v6, v8
	v_add_co_ci_u32_e32 v3, vcc_lo, v7, v9, vcc_lo
	s_delay_alu instid0(VALU_DEP_2) | instskip(NEXT) | instid1(VALU_DEP_2)
	v_sub_co_u32 v2, vcc_lo, v4, v2
	v_sub_co_ci_u32_e32 v3, vcc_lo, v5, v3, vcc_lo
	s_delay_alu instid0(VALU_DEP_1)
	v_cmp_lt_i64_e32 vcc_lo, 0, v[2:3]
	s_and_b32 exec_lo, exec_lo, vcc_lo
	s_cbranch_execz .LBB8_42
; %bb.40:
	v_ashrrev_i32_e32 v4, 31, v18
	v_add_co_u32 v0, vcc_lo, v14, v0
	v_add_co_ci_u32_e32 v1, vcc_lo, v15, v1, vcc_lo
	s_delay_alu instid0(VALU_DEP_3) | instskip(NEXT) | instid1(VALU_DEP_3)
	v_lshrrev_b32_e32 v4, 27, v4
	v_add_co_u32 v6, vcc_lo, v0, v6
	s_delay_alu instid0(VALU_DEP_3) | instskip(NEXT) | instid1(VALU_DEP_3)
	v_add_co_ci_u32_e32 v7, vcc_lo, v1, v7, vcc_lo
	v_add_nc_u32_e32 v4, v18, v4
	s_mov_b32 s3, 0
	s_delay_alu instid0(VALU_DEP_1) | instskip(NEXT) | instid1(VALU_DEP_1)
	v_and_b32_e32 v4, 0xffffffe0, v4
	v_subrev_nc_u32_e32 v5, 32, v4
	v_ashrrev_i32_e32 v0, 31, v4
	s_delay_alu instid0(VALU_DEP_2) | instskip(SKIP_1) | instid1(VALU_DEP_2)
	v_ashrrev_i32_e32 v14, 31, v5
	v_add_co_u32 v1, vcc_lo, v5, 32
	v_add_co_ci_u32_e32 v5, vcc_lo, 0, v14, vcc_lo
	v_add_co_u32 v6, vcc_lo, v6, v8
	v_add_co_ci_u32_e32 v7, vcc_lo, v7, v9, vcc_lo
	.p2align	6
.LBB8_41:                               ; =>This Inner Loop Header: Depth=1
	s_delay_alu instid0(VALU_DEP_2) | instskip(NEXT) | instid1(VALU_DEP_2)
	v_add_co_u32 v8, vcc_lo, v12, v6
	v_add_co_ci_u32_e32 v9, vcc_lo, v13, v7, vcc_lo
	v_sub_co_u32 v2, vcc_lo, v2, v4
	v_sub_co_ci_u32_e32 v3, vcc_lo, v3, v0, vcc_lo
	flat_load_u8 v14, v[8:9] slc dlc
	v_add_co_u32 v8, vcc_lo, v10, v6
	v_add_co_ci_u32_e32 v9, vcc_lo, v11, v7, vcc_lo
	v_cmp_gt_i64_e32 vcc_lo, 1, v[2:3]
	v_add_co_u32 v6, s0, v6, v1
	s_delay_alu instid0(VALU_DEP_1)
	v_add_co_ci_u32_e64 v7, s0, v7, v5, s0
	s_or_b32 s3, vcc_lo, s3
	s_waitcnt vmcnt(0) lgkmcnt(0)
	flat_store_b8 v[8:9], v14 glc slc dlc
	s_and_not1_b32 exec_lo, exec_lo, s3
	s_cbranch_execnz .LBB8_41
.LBB8_42:
	s_or_b32 exec_lo, exec_lo, s2
                                        ; implicit-def: $vgpr32_vgpr33
                                        ; implicit-def: $vgpr14_vgpr15
                                        ; implicit-def: $vgpr4_vgpr5
                                        ; implicit-def: $vgpr34_vgpr35
                                        ; implicit-def: $vgpr37
                                        ; implicit-def: $vgpr10_vgpr11
                                        ; implicit-def: $vgpr30
                                        ; implicit-def: $vgpr0
                                        ; implicit-def: $vgpr31
                                        ; implicit-def: $vgpr8_vgpr9
                                        ; implicit-def: $vgpr2_vgpr3
.LBB8_43:
	s_and_not1_saveexec_b32 s21, s1
	s_cbranch_execz .LBB8_1436
; %bb.44:
	s_cbranch_execnz .LBB8_92
; %bb.45:
	ds_load_b64 v[6:7], v0
	s_mov_b32 s1, exec_lo
	s_waitcnt lgkmcnt(0)
	v_cmp_ne_u32_e32 vcc_lo, -1, v6
	v_cndmask_b32_e64 v1, 0, 1, vcc_lo
	v_cmp_ne_u32_e32 vcc_lo, -1, v7
	s_delay_alu instid0(VALU_DEP_2) | instskip(NEXT) | instid1(VALU_DEP_1)
	v_add_co_ci_u32_e64 v6, s0, 0, v1, vcc_lo
	v_lshlrev_b32_e32 v7, 1, v6
	s_delay_alu instid0(VALU_DEP_1)
	v_cmpx_le_i32_e64 v7, v30
	s_xor_b32 s20, exec_lo, s1
	s_cbranch_execz .LBB8_1433
; %bb.46:
	flat_load_b64 v[24:25], v[2:3] offset:104
	s_cbranch_execnz .LBB8_94
; %bb.47:
	s_load_b32 s0, s[8:9], 0x0
	v_dual_mov_b32 v7, 0 :: v_dual_mov_b32 v48, 4
	s_waitcnt lgkmcnt(0)
	s_cmp_lt_u32 s12, s0
	s_cselect_b32 s0, 12, 18
	s_delay_alu instid0(SALU_CYCLE_1)
	s_add_u32 s0, s8, s0
	s_addc_u32 s1, s9, 0
	global_load_u16 v38, v7, s[0:1]
	ds_load_b32 v7, v0
	s_mov_b32 s1, exec_lo
	s_waitcnt lgkmcnt(0)
	v_readfirstlane_b32 s3, v7
	v_cmpx_ge_i32_e64 v0, v1
	s_cbranch_execz .LBB8_57
; %bb.48:
	v_cmp_le_u32_e64 s0, v6, v0
                                        ; implicit-def: $vgpr48
	s_delay_alu instid0(VALU_DEP_1) | instskip(NEXT) | instid1(SALU_CYCLE_1)
	s_and_saveexec_b32 s2, s0
	s_xor_b32 s0, exec_lo, s2
	s_cbranch_execz .LBB8_54
; %bb.49:
	v_cndmask_b32_e64 v7, 0, 1, vcc_lo
	s_mov_b32 s2, exec_lo
                                        ; implicit-def: $sgpr4
	s_delay_alu instid0(VALU_DEP_1) | instskip(NEXT) | instid1(VALU_DEP_1)
	v_sub_nc_u32_e32 v7, v30, v7
	v_cmpx_ge_u32_e64 v0, v7
	s_xor_b32 s2, exec_lo, s2
; %bb.50:
	s_mov_b32 s4, 16
                                        ; implicit-def: $vgpr6
; %bb.51:
	s_or_saveexec_b32 s2, s2
	v_mov_b32_e32 v48, s4
	s_xor_b32 exec_lo, exec_lo, s2
; %bb.52:
	v_sub_nc_u32_e32 v6, v30, v6
	s_delay_alu instid0(VALU_DEP_1) | instskip(SKIP_1) | instid1(VALU_DEP_1)
	v_cmp_ge_i32_e32 vcc_lo, v0, v6
	v_cndmask_b32_e64 v6, 0, 1, vcc_lo
	v_lshlrev_b32_e32 v48, 5, v6
; %bb.53:
	s_or_b32 exec_lo, exec_lo, s2
.LBB8_54:
	s_and_not1_saveexec_b32 s0, s0
; %bb.55:
	v_mov_b32_e32 v48, 8
; %bb.56:
	s_or_b32 exec_lo, exec_lo, s0
.LBB8_57:
	s_delay_alu instid0(SALU_CYCLE_1) | instskip(SKIP_1) | instid1(VALU_DEP_1)
	s_or_b32 exec_lo, exec_lo, s1
	s_waitcnt vmcnt(3)
	v_dual_mov_b32 v35, -1 :: v_dual_and_b32 v6, 36, v48
	s_delay_alu instid0(VALU_DEP_1)
	v_cmp_ne_u32_e32 vcc_lo, 0, v6
	s_and_saveexec_b32 s0, vcc_lo
	s_cbranch_execz .LBB8_60
; %bb.58:
	s_cbranch_execnz .LBB8_96
; %bb.59:
	ds_load_b32 v35, v0
.LBB8_60:
	s_or_b32 exec_lo, exec_lo, s0
	v_and_b32_e32 v6, 24, v48
	s_mov_b32 s1, exec_lo
	s_delay_alu instid0(VALU_DEP_1)
	v_cmpx_ne_u32_e32 0, v6
	s_cbranch_execz .LBB8_63
; %bb.61:
	s_cbranch_execnz .LBB8_98
; %bb.62:
	s_waitcnt lgkmcnt(0)
	ds_load_b32 v35, v0
.LBB8_63:
	s_or_b32 exec_lo, exec_lo, s1
	v_lshrrev_b64 v[6:7], 31, v[8:9]
	v_mov_b32_e32 v18, 0
	v_mov_b32_e32 v19, 0
                                        ; implicit-def: $vgpr16_vgpr17
                                        ; implicit-def: $vgpr49
                                        ; implicit-def: $vgpr22_vgpr23
                                        ; implicit-def: $vgpr28_vgpr29
                                        ; implicit-def: $vgpr20_vgpr21
	s_delay_alu instid0(VALU_DEP_2) | instskip(NEXT) | instid1(VALU_DEP_2)
	v_dual_mov_b32 v6, v18 :: v_dual_and_b32 v39, 3, v6
	v_mov_b32_e32 v7, v19
	s_and_saveexec_b32 s0, vcc_lo
	s_cbranch_execz .LBB8_76
; %bb.64:
	s_cbranch_execnz .LBB8_100
; %bb.65:
	ds_load_b64 v[6:7], v0
	s_waitcnt lgkmcnt(1)
	v_ashrrev_i32_e32 v36, 31, v35
	v_and_b32_e32 v16, 0xffff, v39
	s_mov_b32 s1, exec_lo
	s_delay_alu instid0(VALU_DEP_2) | instskip(SKIP_1) | instid1(VALU_DEP_1)
	v_lshlrev_b64 v[8:9], 3, v[35:36]
	s_waitcnt lgkmcnt(0)
	v_add_co_u32 v6, vcc_lo, v6, v8
	s_delay_alu instid0(VALU_DEP_2)
	v_add_co_ci_u32_e32 v7, vcc_lo, v7, v9, vcc_lo
	flat_load_b64 v[6:7], v[6:7]
	s_waitcnt vmcnt(0) lgkmcnt(0)
	v_mad_u64_u32 v[8:9], null, 0xa8, v16, v[6:7]
                                        ; implicit-def: $vgpr16_vgpr17
	flat_load_b32 v6, v[8:9] offset:640
	v_add_co_u32 v18, vcc_lo, 0x1f8, v8
	v_add_co_ci_u32_e32 v19, vcc_lo, 0, v9, vcc_lo
	s_waitcnt vmcnt(0) lgkmcnt(0)
	v_cmpx_eq_u32_e32 1, v6
	s_cbranch_execz .LBB8_68
; %bb.66:
	flat_load_b64 v[16:17], v[18:19] offset:144
	s_waitcnt vmcnt(0) lgkmcnt(0)
	flat_load_b64 v[6:7], v[16:17]
	s_cbranch_execnz .LBB8_1161
; %bb.67:
	s_waitcnt vmcnt(0) lgkmcnt(0)
	ds_store_b64 v0, v[6:7]
	flat_load_b64 v[6:7], v[16:17] offset:8
	v_or_b32_e32 v48, 0x2000, v48
	s_waitcnt vmcnt(0) lgkmcnt(0)
	ds_store_b64 v0, v[6:7]
	flat_load_b64 v[6:7], v[16:17] offset:16
	s_waitcnt vmcnt(0) lgkmcnt(0)
	ds_store_b64 v0, v[6:7]
.LBB8_68:
	s_or_b32 exec_lo, exec_lo, s1
	flat_load_b64 v[8:9], v[18:19] offset:104
	v_and_b32_e32 v6, 32, v48
	s_mov_b32 s1, exec_lo
                                        ; implicit-def: $vgpr20_vgpr21
	s_delay_alu instid0(VALU_DEP_1)
	v_cmpx_ne_u32_e32 0, v6
	s_cbranch_execz .LBB8_70
; %bb.69:
	flat_load_b64 v[20:21], v[18:19] offset:56
	s_waitcnt vmcnt(0) lgkmcnt(0)
	s_waitcnt_vscnt null, 0x0
	flat_store_b64 v[20:21], v[8:9]
.LBB8_70:
	s_or_b32 exec_lo, exec_lo, s1
	v_and_b32_e32 v22, 4, v48
	v_mov_b32_e32 v6, 0
	v_mov_b32_e32 v7, 0
                                        ; implicit-def: $vgpr49
                                        ; implicit-def: $vgpr28_vgpr29
	s_delay_alu instid0(VALU_DEP_3)
	v_cmp_ne_u32_e32 vcc_lo, 0, v22
                                        ; implicit-def: $vgpr22_vgpr23
	s_and_saveexec_b32 s1, vcc_lo
	s_cbranch_execz .LBB8_75
; %bb.71:
	v_and_b32_e32 v6, 0x800, v48
	s_mov_b32 s2, exec_lo
	s_delay_alu instid0(VALU_DEP_1)
	v_cmpx_eq_u32_e32 0, v6
	s_cbranch_execz .LBB8_74
; %bb.72:
	s_cbranch_execnz .LBB8_1163
; %bb.73:
	ds_store_b64 v0, v[18:19]
.LBB8_74:
	s_or_b32 exec_lo, exec_lo, s2
	flat_load_b64 v[20:21], v[18:19] offset:48
	v_or_b32_e32 v26, 0x100, v48
	s_waitcnt vmcnt(0) lgkmcnt(0)
	flat_load_b64 v[28:29], v[20:21] glc
	s_clause 0x2
	flat_load_b64 v[6:7], v[18:19] offset:96
	flat_load_b32 v49, v[18:19] offset:72
	flat_load_b64 v[22:23], v[18:19] offset:16
	s_waitcnt vmcnt(2) lgkmcnt(2)
	v_cmp_eq_u64_e32 vcc_lo, 0, v[6:7]
	v_cndmask_b32_e32 v48, v26, v48, vcc_lo
.LBB8_75:
	s_or_b32 exec_lo, exec_lo, s1
.LBB8_76:
	s_delay_alu instid0(SALU_CYCLE_1) | instskip(NEXT) | instid1(VALU_DEP_1)
	s_or_b32 exec_lo, exec_lo, s0
	v_and_b32_e32 v26, 24, v48
	s_delay_alu instid0(VALU_DEP_1)
	v_cmp_ne_u32_e32 vcc_lo, 0, v26
                                        ; implicit-def: $vgpr26_vgpr27
	s_and_saveexec_b32 s0, vcc_lo
	s_cbranch_execz .LBB8_86
; %bb.77:
	s_cbranch_execnz .LBB8_102
; %bb.78:
	ds_load_b64 v[6:7], v0
	s_waitcnt lgkmcnt(1)
	v_ashrrev_i32_e32 v36, 31, v35
	v_or_b32_e32 v26, 0x100, v48
	s_waitcnt vmcnt(0)
	s_delay_alu instid0(VALU_DEP_2) | instskip(SKIP_1) | instid1(VALU_DEP_1)
	v_lshlrev_b64 v[8:9], 3, v[35:36]
	s_waitcnt lgkmcnt(0)
	v_add_co_u32 v6, vcc_lo, v6, v8
	s_delay_alu instid0(VALU_DEP_2)
	v_add_co_ci_u32_e32 v7, vcc_lo, v7, v9, vcc_lo
	v_and_b32_e32 v8, 0xffff, v39
	flat_load_b64 v[6:7], v[6:7]
	s_waitcnt vmcnt(0) lgkmcnt(0)
	v_mad_u64_u32 v[18:19], null, 0xa8, v8, v[6:7]
	flat_load_b128 v[6:9], v[18:19] offset:96
	s_waitcnt vmcnt(0) lgkmcnt(0)
	v_cmp_eq_u64_e32 vcc_lo, 0, v[6:7]
	v_cndmask_b32_e32 v48, v26, v48, vcc_lo
	s_delay_alu instid0(VALU_DEP_1) | instskip(NEXT) | instid1(VALU_DEP_1)
	v_and_b32_e32 v26, 16, v48
	v_cmp_ne_u32_e32 vcc_lo, 0, v26
                                        ; implicit-def: $vgpr26_vgpr27
	s_and_saveexec_b32 s1, vcc_lo
; %bb.79:
	s_clause 0x2
	flat_load_b64 v[26:27], v[18:19] offset:120
	flat_load_b64 v[20:21], v[18:19] offset:48
	;; [unrolled: 1-line block ×3, first 2 shown]
; %bb.80:
	s_or_b32 exec_lo, exec_lo, s1
	v_and_b32_e32 v35, 8, v48
	s_mov_b32 s1, exec_lo
	s_delay_alu instid0(VALU_DEP_1)
	v_cmpx_ne_u32_e32 0, v35
	s_cbranch_execz .LBB8_85
; %bb.81:
	s_waitcnt vmcnt(1) lgkmcnt(1)
	v_and_b32_e32 v20, 0x800, v48
	s_mov_b32 s2, exec_lo
	s_delay_alu instid0(VALU_DEP_1)
	v_cmpx_eq_u32_e32 0, v20
	s_cbranch_execz .LBB8_84
; %bb.82:
	s_cbranch_execnz .LBB8_1165
; %bb.83:
	ds_store_b64 v0, v[18:19]
.LBB8_84:
	s_or_b32 exec_lo, exec_lo, s2
	flat_load_b64 v[20:21], v[18:19] offset:56
	s_waitcnt vmcnt(0) lgkmcnt(0)
	flat_load_b64 v[28:29], v[20:21] glc
	s_clause 0x1
	flat_load_b32 v49, v[18:19] offset:72
	flat_load_b64 v[22:23], v[18:19] offset:16
.LBB8_85:
	s_or_b32 exec_lo, exec_lo, s1
.LBB8_86:
	s_delay_alu instid0(SALU_CYCLE_1) | instskip(SKIP_1) | instid1(VALU_DEP_1)
	s_or_b32 exec_lo, exec_lo, s0
	v_cmp_eq_u32_e64 s0, 0, v0
	s_and_saveexec_b32 s1, s0
	s_cbranch_execz .LBB8_89
; %bb.87:
	s_waitcnt lgkmcnt(0)
	flat_load_b64 v[35:36], v[2:3] offset:32
	s_waitcnt vmcnt(3)
	v_dual_mov_b32 v50, v12 :: v_dual_mov_b32 v51, v13
	v_dual_mov_b32 v52, v10 :: v_dual_mov_b32 v53, v11
	ds_store_2addr_b64 v0, v[50:51], v[52:53] offset1:1
	s_cbranch_execnz .LBB8_104
; %bb.88:
	s_waitcnt vmcnt(0) lgkmcnt(1)
	ds_store_b64 v0, v[35:36]
	ds_store_b64 v0, v[24:25]
.LBB8_89:
	s_or_b32 exec_lo, exec_lo, s1
	s_waitcnt vmcnt(1)
	v_mov_b32_e32 v24, 0
	s_waitcnt vmcnt(0)
	v_dual_mov_b32 v25, 0 :: v_dual_and_b32 v50, 0xffff, v38
	s_mov_b32 s22, exec_lo
	v_cmpx_ne_u64_e32 0, v[4:5]
	s_cbranch_execz .LBB8_1182
; %bb.90:
	flat_load_b32 v24, v[2:3] offset:4
	v_mov_b32_e32 v2, 0
	v_cmp_ne_u32_e64 s1, v32, v37
	v_cmp_ne_u32_e64 s2, v33, v37
	s_mov_b32 s23, 0
	s_cbranch_execnz .LBB8_1159
; %bb.91:
	v_cvt_f64_u32_e32 v[32:33], 0
	v_lshlrev_b32_e32 v3, 9, v34
	v_ashrrev_i32_e32 v25, 31, v0
	v_lshrrev_b32_e32 v54, 5, v30
	v_and_b32_e32 v67, 0xffffffe0, v30
	s_waitcnt vmcnt(0) lgkmcnt(0)
	v_and_b32_e32 v24, 1, v24
	v_and_b32_e32 v3, 0x3ffffe00, v3
	v_lshrrev_b32_e32 v25, 27, v25
	v_lshlrev_b32_e32 v64, 9, v54
	v_subrev_nc_u32_e32 v71, 32, v67
	s_ashr_i32 s4, s3, 31
	v_cvt_f64_u32_e32 v[34:35], v3
	v_add_nc_u32_e32 v25, v0, v25
	s_lshr_b32 s4, s4, 24
	v_ashrrev_i32_e32 v82, 31, v71
	v_cmp_ne_u64_e64 s15, v[12:13], v[10:11]
	s_add_i32 s3, s3, s4
	v_ashrrev_i32_e32 v51, 5, v25
	v_cmp_eq_u32_e32 vcc_lo, 32, v30
	v_cmp_eq_u64_e64 s12, 0, v[26:27]
	v_cmp_ne_u64_e64 s13, 0, v[26:27]
	s_ashr_i32 s24, s3, 8
	v_ashrrev_i32_e32 v52, 31, v49
	v_cmp_ne_u32_e64 s3, 32, v30
	v_cmp_ne_u32_e64 s4, v30, v50
	s_xor_b32 s14, s14, -1
	s_xor_b32 s27, vcc_lo, -1
	s_and_b32 s26, s14, s15
	v_mov_b32_e32 v97, 1
	v_ldexp_f64 v[32:33], v[32:33], 32
	s_delay_alu instid0(VALU_DEP_1) | instskip(SKIP_2) | instid1(VALU_DEP_2)
	v_add_f64 v[32:33], v[32:33], v[34:35]
	v_and_b32_e32 v34, 0xffffffe0, v25
	v_and_b32_e32 v25, 31, v31
	v_sub_nc_u32_e32 v53, v0, v34
	s_delay_alu instid0(VALU_DEP_2) | instskip(SKIP_2) | instid1(VALU_DEP_4)
	v_cmp_eq_u32_e64 s5, 0, v25
	v_lshl_add_u32 v25, v54, 10, 0xfffffc00
	v_lshlrev_b32_e32 v34, 10, v51
	v_cmp_lt_i32_e64 s6, v53, v1
	v_cmp_le_i32_e64 s7, v53, v1
	s_delay_alu instid0(VALU_DEP_4) | instskip(SKIP_2) | instid1(VALU_DEP_3)
	v_ashrrev_i32_e32 v1, 31, v25
	v_add_co_u32 v68, s10, 0x400, v25
	v_lshl_add_u32 v55, v53, 4, v34
	v_add_co_ci_u32_e64 v69, s10, 0, v1, s10
	v_lshl_add_u32 v1, v54, 11, 0xfffff800
	s_delay_alu instid0(VALU_DEP_3) | instskip(SKIP_1) | instid1(VALU_DEP_3)
	v_dual_mov_b32 v34, 0 :: v_dual_add_nc_u32 v83, v55, v34
	v_dual_mov_b32 v35, 0 :: v_dual_add_nc_u32 v66, 0xfffffe00, v64
	v_ashrrev_i32_e32 v25, 31, v1
	v_add_co_u32 v87, s11, 0x800, v1
	v_ashrrev_i32_e32 v65, 31, v55
	v_ashrrev_i32_e32 v86, 31, v83
	s_delay_alu instid0(VALU_DEP_4)
	v_add_co_ci_u32_e64 v96, s11, 0, v25, s11
	v_cmp_eq_u32_e64 s11, 1, v24
	v_dual_mov_b32 v24, v34 :: v_dual_mov_b32 v25, v35
	v_ashrrev_i32_e32 v70, 31, v66
	v_add_co_u32 v80, s10, 0x200, v66
	v_max_f64 v[32:33], v[32:33], v[32:33]
	s_xor_b32 s25, s11, -1
	s_delay_alu instid0(VALU_DEP_3) | instskip(SKIP_1) | instid1(VALU_DEP_1)
	v_add_co_ci_u32_e64 v81, s10, 0, v70, s10
	v_add_co_u32 v84, s10, v71, 32
	v_add_co_ci_u32_e64 v85, s10, 0, v82, s10
	v_cmp_gt_i32_e64 s10, 1, v53
	s_branch .LBB8_107
.LBB8_92:
	s_trap 2
	s_sendmsg_rtn_b32 s0, sendmsg(MSG_RTN_GET_DOORBELL)
	s_mov_b32 ttmp2, m0
	s_waitcnt lgkmcnt(0)
	s_and_b32 s0, s0, 0x3ff
	s_delay_alu instid0(SALU_CYCLE_1) | instskip(NEXT) | instid1(SALU_CYCLE_1)
	s_bitset1_b32 s0, 10
	s_mov_b32 m0, s0
	s_sendmsg sendmsg(MSG_INTERRUPT)
	s_mov_b32 m0, ttmp2
.LBB8_93:                               ; =>This Inner Loop Header: Depth=1
	s_sethalt 5
	s_branch .LBB8_93
.LBB8_94:
	s_trap 2
	s_sendmsg_rtn_b32 s0, sendmsg(MSG_RTN_GET_DOORBELL)
	s_mov_b32 ttmp2, m0
	s_waitcnt lgkmcnt(0)
	s_and_b32 s0, s0, 0x3ff
	s_delay_alu instid0(SALU_CYCLE_1) | instskip(NEXT) | instid1(SALU_CYCLE_1)
	s_bitset1_b32 s0, 10
	s_mov_b32 m0, s0
	s_sendmsg sendmsg(MSG_INTERRUPT)
	s_mov_b32 m0, ttmp2
.LBB8_95:                               ; =>This Inner Loop Header: Depth=1
	s_sethalt 5
	s_branch .LBB8_95
.LBB8_96:
	s_trap 2
	s_sendmsg_rtn_b32 s0, sendmsg(MSG_RTN_GET_DOORBELL)
	s_mov_b32 ttmp2, m0
	s_waitcnt lgkmcnt(0)
	s_and_b32 s0, s0, 0x3ff
	s_delay_alu instid0(SALU_CYCLE_1) | instskip(NEXT) | instid1(SALU_CYCLE_1)
	s_bitset1_b32 s0, 10
	s_mov_b32 m0, s0
	s_sendmsg sendmsg(MSG_INTERRUPT)
	s_mov_b32 m0, ttmp2
.LBB8_97:                               ; =>This Inner Loop Header: Depth=1
	s_sethalt 5
	s_branch .LBB8_97
.LBB8_98:
	s_trap 2
	s_sendmsg_rtn_b32 s0, sendmsg(MSG_RTN_GET_DOORBELL)
	s_mov_b32 ttmp2, m0
	s_waitcnt lgkmcnt(0)
	s_and_b32 s0, s0, 0x3ff
	s_delay_alu instid0(SALU_CYCLE_1) | instskip(NEXT) | instid1(SALU_CYCLE_1)
	s_bitset1_b32 s0, 10
	s_mov_b32 m0, s0
	s_sendmsg sendmsg(MSG_INTERRUPT)
	s_mov_b32 m0, ttmp2
.LBB8_99:                               ; =>This Inner Loop Header: Depth=1
	s_sethalt 5
	s_branch .LBB8_99
.LBB8_100:
	s_trap 2
	s_sendmsg_rtn_b32 s0, sendmsg(MSG_RTN_GET_DOORBELL)
	s_mov_b32 ttmp2, m0
	s_waitcnt lgkmcnt(0)
	s_and_b32 s0, s0, 0x3ff
	s_delay_alu instid0(SALU_CYCLE_1) | instskip(NEXT) | instid1(SALU_CYCLE_1)
	s_bitset1_b32 s0, 10
	s_mov_b32 m0, s0
	s_sendmsg sendmsg(MSG_INTERRUPT)
	s_mov_b32 m0, ttmp2
.LBB8_101:                              ; =>This Inner Loop Header: Depth=1
	s_sethalt 5
	s_branch .LBB8_101
.LBB8_102:
	s_trap 2
	s_sendmsg_rtn_b32 s0, sendmsg(MSG_RTN_GET_DOORBELL)
	s_mov_b32 ttmp2, m0
	s_waitcnt lgkmcnt(0)
	s_and_b32 s0, s0, 0x3ff
	s_delay_alu instid0(SALU_CYCLE_1) | instskip(NEXT) | instid1(SALU_CYCLE_1)
	s_bitset1_b32 s0, 10
	s_mov_b32 m0, s0
	s_sendmsg sendmsg(MSG_INTERRUPT)
	s_mov_b32 m0, ttmp2
.LBB8_103:                              ; =>This Inner Loop Header: Depth=1
	s_sethalt 5
	s_branch .LBB8_103
.LBB8_104:
	s_trap 2
	s_sendmsg_rtn_b32 s0, sendmsg(MSG_RTN_GET_DOORBELL)
	s_mov_b32 ttmp2, m0
	s_waitcnt lgkmcnt(0)
	s_and_b32 s0, s0, 0x3ff
	s_delay_alu instid0(SALU_CYCLE_1) | instskip(NEXT) | instid1(SALU_CYCLE_1)
	s_bitset1_b32 s0, 10
	s_mov_b32 m0, s0
	s_sendmsg sendmsg(MSG_INTERRUPT)
	s_mov_b32 m0, ttmp2
.LBB8_105:                              ; =>This Inner Loop Header: Depth=1
	s_sethalt 5
	s_branch .LBB8_105
.LBB8_106:                              ;   in Loop: Header=BB8_107 Depth=1
	s_or_b32 exec_lo, exec_lo, s14
	v_add_co_u32 v34, vcc_lo, v34, v3
	v_add_co_ci_u32_e32 v35, vcc_lo, 0, v35, vcc_lo
	s_delay_alu instid0(VALU_DEP_1) | instskip(SKIP_1) | instid1(SALU_CYCLE_1)
	v_cmp_ge_u64_e32 vcc_lo, v[34:35], v[4:5]
	s_or_b32 s23, vcc_lo, s23
	s_and_not1_b32 exec_lo, exec_lo, s23
	s_cbranch_execz .LBB8_1181
.LBB8_107:                              ; =>This Loop Header: Depth=1
                                        ;     Child Loop BB8_119 Depth 2
                                        ;     Child Loop BB8_151 Depth 2
	;; [unrolled: 1-line block ×5, first 2 shown]
                                        ;       Child Loop BB8_206 Depth 3
                                        ;     Child Loop BB8_217 Depth 2
                                        ;     Child Loop BB8_223 Depth 2
                                        ;       Child Loop BB8_224 Depth 3
                                        ;     Child Loop BB8_237 Depth 2
                                        ;     Child Loop BB8_243 Depth 2
	;; [unrolled: 1-line block ×26, first 2 shown]
                                        ;       Child Loop BB8_728 Depth 3
                                        ;     Child Loop BB8_739 Depth 2
                                        ;     Child Loop BB8_745 Depth 2
                                        ;       Child Loop BB8_746 Depth 3
                                        ;     Child Loop BB8_759 Depth 2
                                        ;     Child Loop BB8_765 Depth 2
	;; [unrolled: 1-line block ×21, first 2 shown]
	v_sub_co_u32 v1, vcc_lo, v4, v34
	v_sub_co_ci_u32_e32 v10, vcc_lo, v5, v35, vcc_lo
	s_mov_b32 s28, 0
	s_delay_alu instid0(VALU_DEP_2) | instskip(NEXT) | instid1(VALU_DEP_2)
	v_cvt_f64_u32_e32 v[12:13], v1
	v_cvt_f64_u32_e32 v[10:11], v10
	s_delay_alu instid0(VALU_DEP_1) | instskip(NEXT) | instid1(VALU_DEP_1)
	v_ldexp_f64 v[10:11], v[10:11], 32
	v_add_f64 v[10:11], v[10:11], v[12:13]
	s_delay_alu instid0(VALU_DEP_1) | instskip(NEXT) | instid1(VALU_DEP_1)
	v_min_f64 v[10:11], v[32:33], v[10:11]
	v_cvt_i32_f64_e32 v11, v[10:11]
	s_delay_alu instid0(VALU_DEP_1) | instskip(SKIP_2) | instid1(VALU_DEP_3)
	v_max_i32_e32 v39, 0, v11
	v_cmp_gt_i32_e64 s14, 1, v11
	v_cmp_lt_i32_e64 s15, 0, v11
	v_add_nc_u32_e32 v1, 15, v39
	s_delay_alu instid0(VALU_DEP_1) | instskip(NEXT) | instid1(VALU_DEP_1)
	v_ashrrev_i32_e32 v10, 31, v1
	v_lshrrev_b32_e32 v10, 28, v10
	s_delay_alu instid0(VALU_DEP_1) | instskip(NEXT) | instid1(VALU_DEP_1)
	v_add_nc_u32_e32 v1, v1, v10
	v_and_b32_e32 v12, -16, v1
	v_add_co_u32 v1, vcc_lo, v34, v14
	v_add_co_ci_u32_e32 v10, vcc_lo, v35, v15, vcc_lo
	s_delay_alu instid0(VALU_DEP_3) | instskip(SKIP_1) | instid1(SALU_CYCLE_1)
	v_max_i32_e32 v36, s24, v12
	s_and_saveexec_b32 s16, s1
	s_xor_b32 s29, exec_lo, s16
	s_cbranch_execz .LBB8_634
; %bb.108:                              ;   in Loop: Header=BB8_107 Depth=1
	s_mov_b32 s18, 0
	s_and_saveexec_b32 s16, s2
	s_delay_alu instid0(SALU_CYCLE_1)
	s_xor_b32 s28, exec_lo, s16
	s_cbranch_execz .LBB8_398
; %bb.109:                              ;   in Loop: Header=BB8_107 Depth=1
	v_mov_b32_e32 v12, 0
	s_and_saveexec_b32 vcc_hi, s15
	s_cbranch_execz .LBB8_315
; %bb.110:                              ;   in Loop: Header=BB8_107 Depth=1
	s_and_saveexec_b32 s17, s0
	s_cbranch_execz .LBB8_113
; %bb.111:                              ;   in Loop: Header=BB8_107 Depth=1
	s_cbranch_execnz .LBB8_1167
; %bb.112:                              ;   in Loop: Header=BB8_107 Depth=1
	ds_load_b128 v[98:101], v0
	s_waitcnt lgkmcnt(0)
	v_add_co_u32 v13, vcc_lo, v100, v1
	v_add_co_ci_u32_e32 v37, vcc_lo, v101, v10, vcc_lo
	v_cmp_ne_u64_e32 vcc_lo, 0, v[100:101]
	v_add_co_u32 v11, s16, v98, v1
	s_delay_alu instid0(VALU_DEP_1) | instskip(NEXT) | instid1(VALU_DEP_4)
	v_add_co_ci_u32_e64 v12, s16, v99, v10, s16
	v_cndmask_b32_e32 v38, 0, v37, vcc_lo
	v_cndmask_b32_e32 v37, 0, v13, vcc_lo
	ds_store_b64 v0, v[11:12]
	ds_store_b64 v0, v[37:38]
.LBB8_113:                              ;   in Loop: Header=BB8_107 Depth=1
	s_or_b32 exec_lo, exec_lo, s17
	v_and_b32_e32 v1, 12, v48
	s_mov_b32 s17, -1
	s_mov_b32 s16, exec_lo
	s_delay_alu instid0(VALU_DEP_1)
	v_cmpx_ne_u32_e32 0, v1
	s_cbranch_execz .LBB8_127
; %bb.114:                              ;   in Loop: Header=BB8_107 Depth=1
	v_and_b32_e32 v1, 8, v48
	s_delay_alu instid0(VALU_DEP_1) | instskip(SKIP_3) | instid1(VALU_DEP_1)
	v_add_co_u32 v12, vcc_lo, v28, v1
	v_add_co_ci_u32_e32 v13, vcc_lo, 0, v29, vcc_lo
	v_add_co_u32 v10, vcc_lo, v8, 1
	v_add_co_ci_u32_e32 v11, vcc_lo, 0, v9, vcc_lo
	v_cmp_lt_u64_e32 vcc_lo, v[12:13], v[10:11]
	v_mov_b32_e32 v12, 1
	s_and_saveexec_b32 s17, vcc_lo
	s_cbranch_execz .LBB8_126
; %bb.115:                              ;   in Loop: Header=BB8_107 Depth=1
	v_mov_b32_e32 v12, 0
                                        ; implicit-def: $sgpr19
	s_branch .LBB8_119
.LBB8_116:                              ;   in Loop: Header=BB8_119 Depth=2
	s_or_b32 exec_lo, exec_lo, s35
	v_mov_b32_e32 v13, 0
	s_or_not1_b32 s34, s34, exec_lo
.LBB8_117:                              ;   in Loop: Header=BB8_119 Depth=2
	s_or_b32 exec_lo, exec_lo, s31
	s_delay_alu instid0(VALU_DEP_1) | instskip(SKIP_2) | instid1(SALU_CYCLE_1)
	v_mov_b32_e32 v12, v13
	s_and_not1_b32 s19, s19, exec_lo
	s_and_b32 vcc_lo, s34, exec_lo
	s_or_b32 s19, s19, vcc_lo
.LBB8_118:                              ;   in Loop: Header=BB8_119 Depth=2
	s_or_b32 exec_lo, exec_lo, s30
	s_waitcnt vmcnt(0) lgkmcnt(0)
	v_add_co_u32 v37, vcc_lo, v28, v1
	v_add_co_ci_u32_e32 v38, vcc_lo, 0, v29, vcc_lo
	s_xor_b32 s30, s19, -1
	s_delay_alu instid0(VALU_DEP_1) | instskip(SKIP_1) | instid1(SALU_CYCLE_1)
	v_cmp_ge_u64_e32 vcc_lo, v[37:38], v[10:11]
	s_or_b32 vcc_lo, s30, vcc_lo
	s_and_b32 vcc_lo, exec_lo, vcc_lo
	s_delay_alu instid0(SALU_CYCLE_1) | instskip(NEXT) | instid1(SALU_CYCLE_1)
	s_or_b32 s18, vcc_lo, s18
	s_and_not1_b32 exec_lo, exec_lo, s18
	s_cbranch_execz .LBB8_125
.LBB8_119:                              ;   Parent Loop BB8_107 Depth=1
                                        ; =>  This Inner Loop Header: Depth=2
	s_sleep 1
	flat_load_b64 v[28:29], v[20:21] glc
	v_and_b32_e32 v13, 64, v48
	s_and_not1_b32 s19, s19, exec_lo
	s_mov_b32 s30, exec_lo
	s_delay_alu instid0(VALU_DEP_1)
	v_cmpx_eq_u32_e32 0, v13
	s_cbranch_execz .LBB8_118
; %bb.120:                              ;   in Loop: Header=BB8_119 Depth=2
	v_add_nc_u32_e32 v13, 1, v12
	s_mov_b32 s34, -1
	s_mov_b32 s31, exec_lo
	v_cmpx_lt_i32_e32 0x270e, v12
	s_cbranch_execz .LBB8_117
; %bb.121:                              ;   in Loop: Header=BB8_119 Depth=2
	s_cbranch_execnz .LBB8_1221
; %bb.122:                              ;   in Loop: Header=BB8_119 Depth=2
	ds_load_b64 v[12:13], v0
	s_mov_b32 s35, exec_lo
	s_waitcnt vmcnt(0) lgkmcnt(0)
	s_waitcnt_vscnt null, 0x0
	flat_load_b32 v12, v[12:13] glc
	s_waitcnt vmcnt(0) lgkmcnt(0)
	buffer_gl1_inv
	buffer_gl0_inv
	v_cmpx_ne_u32_e32 0, v12
	s_cbranch_execz .LBB8_116
; %bb.123:                              ;   in Loop: Header=BB8_119 Depth=2
	ds_store_b32 v0, v12
	s_cbranch_execnz .LBB8_1266
; %bb.124:                              ;   in Loop: Header=BB8_119 Depth=2
	v_or_b32_e32 v48, 64, v48
	s_xor_b32 s34, exec_lo, -1
	s_branch .LBB8_116
.LBB8_125:                              ;   in Loop: Header=BB8_107 Depth=1
	s_or_b32 exec_lo, exec_lo, s18
	v_and_b32_e32 v12, 12, v48
.LBB8_126:                              ;   in Loop: Header=BB8_107 Depth=1
	s_or_b32 exec_lo, exec_lo, s17
	s_delay_alu instid0(VALU_DEP_1)
	v_cmp_eq_u32_e32 vcc_lo, 0, v12
	;;#ASMSTART
	s_wakeup
	;;#ASMEND
	s_or_not1_b32 s17, vcc_lo, exec_lo
.LBB8_127:                              ;   in Loop: Header=BB8_107 Depth=1
	s_or_b32 exec_lo, exec_lo, s16
	v_min_i32_e32 v36, v36, v39
	s_xor_b32 s16, s17, -1
	s_delay_alu instid0(SALU_CYCLE_1)
	s_and_saveexec_b32 s17, s16
	s_cbranch_execz .LBB8_142
; %bb.128:                              ;   in Loop: Header=BB8_107 Depth=1
	v_and_b32_e32 v1, 0x108, v48
	s_mov_b32 s16, exec_lo
	s_delay_alu instid0(VALU_DEP_1)
	v_cmpx_ne_u32_e32 0x108, v1
	s_xor_b32 s16, exec_lo, s16
                                        ; implicit-def: $vgpr10_vgpr11
; %bb.129:                              ;   in Loop: Header=BB8_107 Depth=1
	v_and_b32_e32 v10, 7, v8
; %bb.130:                              ;   in Loop: Header=BB8_107 Depth=1
	s_and_not1_saveexec_b32 s16, s16
	s_cbranch_execz .LBB8_132
; %bb.131:                              ;   in Loop: Header=BB8_107 Depth=1
	v_and_b32_e32 v10, 7, v8
	v_ashrrev_i32_e32 v37, 31, v36
	s_delay_alu instid0(VALU_DEP_2)
	v_mad_u64_u32 v[11:12], null, v10, 24, v[6:7]
	flat_store_b64 v[11:12], v[36:37] offset:8
.LBB8_132:                              ;   in Loop: Header=BB8_107 Depth=1
	s_or_b32 exec_lo, exec_lo, s16
	v_and_b32_e32 v1, 0x100, v48
	s_mov_b32 s16, -1
	s_mov_b32 s18, exec_lo
                                        ; implicit-def: $vgpr11_vgpr12
	s_delay_alu instid0(VALU_DEP_1)
	v_cmpx_ne_u32_e32 0, v1
	s_cbranch_execnz .LBB8_135
; %bb.133:                              ;   in Loop: Header=BB8_107 Depth=1
	s_or_b32 exec_lo, exec_lo, s18
	s_and_saveexec_b32 s18, s16
	s_cbranch_execnz .LBB8_138
.LBB8_134:                              ;   in Loop: Header=BB8_107 Depth=1
	s_or_b32 exec_lo, exec_lo, s18
	s_cbranch_execnz .LBB8_1179
	s_branch .LBB8_139
.LBB8_135:                              ;   in Loop: Header=BB8_107 Depth=1
	v_mad_u64_u32 v[37:38], null, v10, 24, v[6:7]
	s_mov_b32 s19, exec_lo
	s_delay_alu instid0(VALU_DEP_1) | instskip(NEXT) | instid1(VALU_DEP_1)
	v_mov_b32_e32 v1, v38
	v_mad_u64_u32 v[11:12], null, v2, 24, v[1:2]
	s_delay_alu instid0(VALU_DEP_1)
	v_mov_b32_e32 v38, v11
                                        ; implicit-def: $vgpr11_vgpr12
	flat_load_b32 v1, v[37:38]
	s_waitcnt vmcnt(0) lgkmcnt(0)
	v_cmp_ne_u32_e32 vcc_lo, 1, v1
	v_cmpx_eq_u32_e32 1, v1
	s_cbranch_execz .LBB8_137
; %bb.136:                              ;   in Loop: Header=BB8_107 Depth=1
	flat_load_b32 v11, v[37:38] offset:4 glc
	s_waitcnt vmcnt(0) lgkmcnt(0)
	v_ashrrev_i32_e32 v12, 31, v11
.LBB8_137:                              ;   in Loop: Header=BB8_107 Depth=1
	s_or_b32 exec_lo, exec_lo, s19
	s_delay_alu instid0(SALU_CYCLE_1)
	s_or_not1_b32 s16, vcc_lo, exec_lo
	s_or_b32 exec_lo, exec_lo, s18
	s_and_saveexec_b32 s18, s16
	s_cbranch_execz .LBB8_134
.LBB8_138:                              ;   in Loop: Header=BB8_107 Depth=1
	v_mul_lo_u32 v1, v2, v49
	v_mul_lo_u32 v13, v10, v52
	v_mad_u64_u32 v[11:12], null, v10, v49, 0
	s_delay_alu instid0(VALU_DEP_1)
	v_add3_u32 v12, v12, v13, v1
	s_or_b32 exec_lo, exec_lo, s18
	s_cbranch_execnz .LBB8_1179
.LBB8_139:                              ;   in Loop: Header=BB8_107 Depth=1
	s_delay_alu instid0(VALU_DEP_2)
	v_add_co_u32 v10, vcc_lo, v22, v11
	v_and_b32_e32 v1, 0x2000, v48
	v_add_co_ci_u32_e32 v11, vcc_lo, v23, v12, vcc_lo
	s_mov_b32 s16, exec_lo
	ds_store_b64 v0, v[10:11]
	v_cmpx_ne_u32_e32 0, v1
	s_cbranch_execz .LBB8_141
; %bb.140:                              ;   in Loop: Header=BB8_107 Depth=1
	ds_load_b64 v[10:11], v0 offset:584
	s_waitcnt lgkmcnt(0)
	v_add_co_u32 v10, vcc_lo, v10, 1
	v_add_co_ci_u32_e32 v11, vcc_lo, 0, v11, vcc_lo
	ds_store_b64 v0, v[10:11] offset:584
.LBB8_141:                              ;   in Loop: Header=BB8_107 Depth=1
	s_or_b32 exec_lo, exec_lo, s16
	v_add_co_u32 v8, vcc_lo, v8, 1
	v_add_co_ci_u32_e32 v9, vcc_lo, 0, v9, vcc_lo
.LBB8_142:                              ;   in Loop: Header=BB8_107 Depth=1
	s_or_b32 exec_lo, exec_lo, s17
	s_and_saveexec_b32 s16, s3
	s_cbranch_execz .LBB8_164
; %bb.143:                              ;   in Loop: Header=BB8_107 Depth=1
	s_and_saveexec_b32 s17, s4
	s_delay_alu instid0(SALU_CYCLE_1)
	s_xor_b32 s17, exec_lo, s17
	s_cbranch_execz .LBB8_161
; %bb.144:                              ;   in Loop: Header=BB8_107 Depth=1
	s_and_saveexec_b32 s18, s5
	s_cbranch_execz .LBB8_160
; %bb.145:                              ;   in Loop: Header=BB8_107 Depth=1
	s_mov_b32 s30, exec_lo
	s_mov_b32 s19, exec_lo
	v_mbcnt_lo_u32_b32 v1, s30, 0
	s_waitcnt lgkmcnt(0)
	s_waitcnt_vscnt null, 0x0
	buffer_gl1_inv
	buffer_gl0_inv
	v_cmpx_eq_u32_e32 0, v1
	s_cbranch_execz .LBB8_147
; %bb.146:                              ;   in Loop: Header=BB8_107 Depth=1
	s_bcnt1_i32_b32 vcc_lo, s30
	s_delay_alu instid0(SALU_CYCLE_1)
	v_mov_b32_e32 v1, vcc_lo
	ds_add_u64 v0, v[1:2]
	s_cbranch_execnz .LBB8_1300
.LBB8_147:                              ;   in Loop: Header=BB8_107 Depth=1
	s_or_b32 exec_lo, exec_lo, s19
	s_cbranch_execnz .LBB8_1280
; %bb.148:                              ;   in Loop: Header=BB8_107 Depth=1
	ds_load_b64 v[10:11], v0
	v_add_co_u32 v24, vcc_lo, v24, v54
	v_add_co_ci_u32_e32 v25, vcc_lo, 0, v25, vcc_lo
	s_mov_b32 s19, exec_lo
	s_waitcnt lgkmcnt(0)
	s_delay_alu instid0(VALU_DEP_1)
	v_cmpx_lt_u64_e64 v[10:11], v[24:25]
	s_cbranch_execz .LBB8_159
; %bb.149:                              ;   in Loop: Header=BB8_107 Depth=1
	s_mov_b32 s30, 0
	s_mov_b32 s35, 0
                                        ; implicit-def: $sgpr31
                                        ; implicit-def: $sgpr34
	s_branch .LBB8_151
.LBB8_150:                              ;   in Loop: Header=BB8_151 Depth=2
	s_or_b32 exec_lo, exec_lo, s37
	s_delay_alu instid0(SALU_CYCLE_1) | instskip(NEXT) | instid1(SALU_CYCLE_1)
	s_and_b32 vcc_lo, exec_lo, vcc_lo
	s_or_b32 s30, vcc_lo, s30
	s_and_not1_b32 vcc_lo, s31, exec_lo
	s_and_b32 s31, s34, exec_lo
	s_delay_alu instid0(SALU_CYCLE_1)
	s_or_b32 s31, vcc_lo, s31
	s_and_not1_b32 exec_lo, exec_lo, s30
	s_cbranch_execz .LBB8_157
.LBB8_151:                              ;   Parent Loop BB8_107 Depth=1
                                        ; =>  This Inner Loop Header: Depth=2
	s_add_i32 s35, s35, 1
                                        ; implicit-def: $sgpr37
	s_delay_alu instid0(SALU_CYCLE_1) | instskip(SKIP_1) | instid1(SALU_CYCLE_1)
	s_cmpk_lg_i32 s35, 0x2710
	s_cselect_b32 s36, -1, 0
	s_and_b32 vcc_lo, exec_lo, s36
	s_cbranch_vccz .LBB8_155
.LBB8_152:                              ;   in Loop: Header=BB8_151 Depth=2
	s_and_not1_b32 s34, s34, exec_lo
	s_and_b32 s37, s37, exec_lo
	s_mov_b32 vcc_lo, -1
	s_or_b32 s34, s34, s37
	s_and_saveexec_b32 s37, s36
	s_cbranch_execz .LBB8_150
; %bb.153:                              ;   in Loop: Header=BB8_151 Depth=2
	s_sleep 1
	s_cbranch_execnz .LBB8_1352
; %bb.154:                              ;   in Loop: Header=BB8_151 Depth=2
	ds_load_b64 v[10:11], v0
	s_and_not1_b32 s34, s34, exec_lo
	s_waitcnt lgkmcnt(0)
	v_cmp_ge_u64_e32 vcc_lo, v[10:11], v[24:25]
	s_or_not1_b32 vcc_lo, vcc_lo, exec_lo
	s_branch .LBB8_150
.LBB8_155:                              ;   in Loop: Header=BB8_151 Depth=2
	s_cbranch_execnz .LBB8_1360
; %bb.156:                              ;   in Loop: Header=BB8_151 Depth=2
	ds_load_b64 v[10:11], v0
	s_and_not1_b32 s36, s36, exec_lo
	s_mov_b32 s35, 0
	s_mov_b32 s37, -1
	s_waitcnt lgkmcnt(0)
	flat_load_b32 v1, v[10:11] glc
	s_waitcnt vmcnt(0) lgkmcnt(0)
	buffer_gl1_inv
	buffer_gl0_inv
	v_cmp_eq_u32_e32 vcc_lo, 0, v1
	s_and_b32 vcc_lo, vcc_lo, exec_lo
	s_delay_alu instid0(SALU_CYCLE_1)
	s_or_b32 s36, s36, vcc_lo
	s_branch .LBB8_152
.LBB8_157:                              ;   in Loop: Header=BB8_107 Depth=1
	s_or_b32 exec_lo, exec_lo, s30
	s_and_saveexec_b32 vcc_lo, s31
	s_delay_alu instid0(SALU_CYCLE_1)
	s_xor_b32 vcc_lo, exec_lo, vcc_lo
	s_cbranch_execz .LBB8_159
; %bb.158:                              ;   in Loop: Header=BB8_107 Depth=1
	ds_store_b32 v0, v97
	s_cbranch_execnz .LBB8_1543
.LBB8_159:                              ;   in Loop: Header=BB8_107 Depth=1
	s_or_b32 exec_lo, exec_lo, s19
	;;#ASMSTART
	s_wakeup
	;;#ASMEND
.LBB8_160:                              ;   in Loop: Header=BB8_107 Depth=1
	s_or_b32 exec_lo, exec_lo, s18
.LBB8_161:                              ;   in Loop: Header=BB8_107 Depth=1
	s_and_not1_saveexec_b32 s17, s17
	s_cbranch_execz .LBB8_163
; %bb.162:                              ;   in Loop: Header=BB8_107 Depth=1
	s_waitcnt lgkmcnt(0)
	s_waitcnt_vscnt null, 0x0
	buffer_gl1_inv
	buffer_gl0_inv
	s_barrier
.LBB8_163:                              ;   in Loop: Header=BB8_107 Depth=1
	s_or_b32 exec_lo, exec_lo, s17
.LBB8_164:                              ;   in Loop: Header=BB8_107 Depth=1
	s_delay_alu instid0(SALU_CYCLE_1)
	s_or_b32 exec_lo, exec_lo, s16
	s_cbranch_execnz .LBB8_1169
; %bb.165:                              ;   in Loop: Header=BB8_107 Depth=1
	ds_load_b32 v10, v0
	v_and_b32_e32 v1, 0x4000, v48
	s_delay_alu instid0(VALU_DEP_1) | instskip(SKIP_1) | instid1(SALU_CYCLE_1)
	v_cmp_ne_u32_e32 vcc_lo, 0, v1
	s_and_b32 s17, s27, vcc_lo
	s_and_saveexec_b32 s16, s17
	s_cbranch_execz .LBB8_187
; %bb.166:                              ;   in Loop: Header=BB8_107 Depth=1
	s_and_saveexec_b32 s17, s4
	s_delay_alu instid0(SALU_CYCLE_1)
	s_xor_b32 s17, exec_lo, s17
	s_cbranch_execz .LBB8_184
; %bb.167:                              ;   in Loop: Header=BB8_107 Depth=1
	s_and_saveexec_b32 s18, s5
	s_cbranch_execz .LBB8_183
; %bb.168:                              ;   in Loop: Header=BB8_107 Depth=1
	s_mov_b32 s30, exec_lo
	s_mov_b32 s19, exec_lo
	v_mbcnt_lo_u32_b32 v1, s30, 0
	s_waitcnt lgkmcnt(0)
	s_waitcnt_vscnt null, 0x0
	buffer_gl1_inv
	buffer_gl0_inv
	v_cmpx_eq_u32_e32 0, v1
	s_cbranch_execz .LBB8_170
; %bb.169:                              ;   in Loop: Header=BB8_107 Depth=1
	s_bcnt1_i32_b32 vcc_lo, s30
	s_delay_alu instid0(SALU_CYCLE_1)
	v_mov_b32_e32 v1, vcc_lo
	ds_add_u64 v0, v[1:2]
	s_cbranch_execnz .LBB8_1342
.LBB8_170:                              ;   in Loop: Header=BB8_107 Depth=1
	s_or_b32 exec_lo, exec_lo, s19
	s_cbranch_execnz .LBB8_1322
; %bb.171:                              ;   in Loop: Header=BB8_107 Depth=1
	ds_load_b64 v[11:12], v0
	v_add_co_u32 v24, vcc_lo, v24, v54
	v_add_co_ci_u32_e32 v25, vcc_lo, 0, v25, vcc_lo
	s_mov_b32 s19, exec_lo
	s_waitcnt lgkmcnt(0)
	s_delay_alu instid0(VALU_DEP_1)
	v_cmpx_lt_u64_e64 v[11:12], v[24:25]
	s_cbranch_execz .LBB8_182
; %bb.172:                              ;   in Loop: Header=BB8_107 Depth=1
	s_mov_b32 s30, 0
	s_mov_b32 s35, 0
                                        ; implicit-def: $sgpr31
                                        ; implicit-def: $sgpr34
	s_branch .LBB8_174
.LBB8_173:                              ;   in Loop: Header=BB8_174 Depth=2
	s_or_b32 exec_lo, exec_lo, s37
	s_delay_alu instid0(SALU_CYCLE_1) | instskip(NEXT) | instid1(SALU_CYCLE_1)
	s_and_b32 vcc_lo, exec_lo, vcc_lo
	s_or_b32 s30, vcc_lo, s30
	s_and_not1_b32 vcc_lo, s31, exec_lo
	s_and_b32 s31, s34, exec_lo
	s_delay_alu instid0(SALU_CYCLE_1)
	s_or_b32 s31, vcc_lo, s31
	s_and_not1_b32 exec_lo, exec_lo, s30
	s_cbranch_execz .LBB8_180
.LBB8_174:                              ;   Parent Loop BB8_107 Depth=1
                                        ; =>  This Inner Loop Header: Depth=2
	s_add_i32 s35, s35, 1
                                        ; implicit-def: $sgpr37
	s_delay_alu instid0(SALU_CYCLE_1) | instskip(SKIP_1) | instid1(SALU_CYCLE_1)
	s_cmpk_lg_i32 s35, 0x2710
	s_cselect_b32 s36, -1, 0
	s_and_b32 vcc_lo, exec_lo, s36
	s_cbranch_vccz .LBB8_178
.LBB8_175:                              ;   in Loop: Header=BB8_174 Depth=2
	s_and_not1_b32 s34, s34, exec_lo
	s_and_b32 s37, s37, exec_lo
	s_mov_b32 vcc_lo, -1
	s_or_b32 s34, s34, s37
	s_and_saveexec_b32 s37, s36
	s_cbranch_execz .LBB8_173
; %bb.176:                              ;   in Loop: Header=BB8_174 Depth=2
	s_sleep 1
	s_cbranch_execnz .LBB8_1410
; %bb.177:                              ;   in Loop: Header=BB8_174 Depth=2
	ds_load_b64 v[11:12], v0
	s_and_not1_b32 s34, s34, exec_lo
	s_waitcnt lgkmcnt(0)
	v_cmp_ge_u64_e32 vcc_lo, v[11:12], v[24:25]
	s_or_not1_b32 vcc_lo, vcc_lo, exec_lo
	s_branch .LBB8_173
.LBB8_178:                              ;   in Loop: Header=BB8_174 Depth=2
	s_cbranch_execnz .LBB8_1441
; %bb.179:                              ;   in Loop: Header=BB8_174 Depth=2
	ds_load_b64 v[11:12], v0
	s_and_not1_b32 s36, s36, exec_lo
	s_mov_b32 s35, 0
	s_mov_b32 s37, -1
	s_waitcnt lgkmcnt(0)
	flat_load_b32 v1, v[11:12] glc
	s_waitcnt vmcnt(0) lgkmcnt(0)
	buffer_gl1_inv
	buffer_gl0_inv
	v_cmp_eq_u32_e32 vcc_lo, 0, v1
	s_and_b32 vcc_lo, vcc_lo, exec_lo
	s_delay_alu instid0(SALU_CYCLE_1)
	s_or_b32 s36, s36, vcc_lo
	s_branch .LBB8_175
.LBB8_180:                              ;   in Loop: Header=BB8_107 Depth=1
	s_or_b32 exec_lo, exec_lo, s30
	s_and_saveexec_b32 vcc_lo, s31
	s_delay_alu instid0(SALU_CYCLE_1)
	s_xor_b32 vcc_lo, exec_lo, vcc_lo
	s_cbranch_execz .LBB8_182
; %bb.181:                              ;   in Loop: Header=BB8_107 Depth=1
	ds_store_b32 v0, v97
	s_cbranch_execnz .LBB8_1563
.LBB8_182:                              ;   in Loop: Header=BB8_107 Depth=1
	s_or_b32 exec_lo, exec_lo, s19
	;;#ASMSTART
	s_wakeup
	;;#ASMEND
.LBB8_183:                              ;   in Loop: Header=BB8_107 Depth=1
	s_or_b32 exec_lo, exec_lo, s18
.LBB8_184:                              ;   in Loop: Header=BB8_107 Depth=1
	s_and_not1_saveexec_b32 s17, s17
	s_cbranch_execz .LBB8_186
; %bb.185:                              ;   in Loop: Header=BB8_107 Depth=1
	s_waitcnt lgkmcnt(0)
	s_waitcnt_vscnt null, 0x0
	buffer_gl1_inv
	buffer_gl0_inv
	s_barrier
.LBB8_186:                              ;   in Loop: Header=BB8_107 Depth=1
	s_or_b32 exec_lo, exec_lo, s17
.LBB8_187:                              ;   in Loop: Header=BB8_107 Depth=1
	s_delay_alu instid0(SALU_CYCLE_1)
	s_or_b32 exec_lo, exec_lo, s16
	s_cbranch_execnz .LBB8_1229
; %bb.188:                              ;   in Loop: Header=BB8_107 Depth=1
	ds_load_b64 v[11:12], v0
	s_waitcnt lgkmcnt(0)
	v_cmp_eq_u64_e32 vcc_lo, 0, v[11:12]
	s_or_b32 s16, vcc_lo, vcc_lo
	s_delay_alu instid0(SALU_CYCLE_1)
	s_and_b32 vcc_lo, exec_lo, s16
	s_mov_b32 s16, 0
	s_cbranch_vccnz .LBB8_262
; %bb.189:                              ;   in Loop: Header=BB8_107 Depth=1
	v_cmp_eq_u32_e32 vcc_lo, 0, v10
	s_cbranch_execnz .LBB8_1274
; %bb.190:                              ;   in Loop: Header=BB8_107 Depth=1
	ds_load_b64 v[10:11], v0
	v_cndmask_b32_e32 v1, 0, v36, vcc_lo
	s_waitcnt lgkmcnt(0)
	v_cmp_ne_u64_e64 s16, 0, v[10:11]
	s_delay_alu instid0(VALU_DEP_1)
	s_and_b32 vcc_lo, exec_lo, s16
	s_cbranch_vccz .LBB8_227
; %bb.191:                              ;   in Loop: Header=BB8_107 Depth=1
	s_mov_b32 s16, -1
	s_and_saveexec_b32 s17, s6
	s_cbranch_execz .LBB8_193
; %bb.192:                              ;   in Loop: Header=BB8_107 Depth=1
	ds_load_b32 v10, v0 offset:720
	s_waitcnt lgkmcnt(0)
	v_and_b32_e32 v10, 15, v10
	s_delay_alu instid0(VALU_DEP_1)
	v_cmp_eq_u32_e32 vcc_lo, 0, v10
	s_or_not1_b32 s16, vcc_lo, exec_lo
.LBB8_193:                              ;   in Loop: Header=BB8_107 Depth=1
	s_or_b32 exec_lo, exec_lo, s17
	s_and_saveexec_b32 s17, s7
	s_cbranch_execz .LBB8_195
; %bb.194:                              ;   in Loop: Header=BB8_107 Depth=1
	ds_load_b32 v10, v0 offset:784
	s_waitcnt lgkmcnt(0)
	v_and_b32_e32 v10, 15, v10
	s_delay_alu instid0(VALU_DEP_1) | instskip(SKIP_3) | instid1(SALU_CYCLE_1)
	v_cmp_eq_u32_e32 vcc_lo, 0, v10
	s_and_b32 s18, s16, vcc_lo
	s_and_not1_b32 s16, s16, exec_lo
	s_and_b32 s18, s18, exec_lo
	s_or_b32 s16, s16, s18
.LBB8_195:                              ;   in Loop: Header=BB8_107 Depth=1
	s_or_b32 exec_lo, exec_lo, s17
	s_xor_b32 s16, s16, -1
	v_dual_mov_b32 v98, 0 :: v_dual_mov_b32 v99, v1
	v_cndmask_b32_e64 v10, 0, 1, s16
	;;#ASMSTART
	;;#ASMEND
	s_delay_alu instid0(VALU_DEP_1)
	v_cmp_ne_u32_e32 vcc_lo, 0, v10
	v_mov_b32_e32 v100, v0
	v_mov_b32_e32 v10, v51
	s_mov_b32 s16, -1
	s_cbranch_vccnz .LBB8_213
; %bb.196:                              ;   in Loop: Header=BB8_107 Depth=1
	v_ashrrev_i32_e32 v10, 31, v1
	s_mov_b32 s17, exec_lo
	s_delay_alu instid0(VALU_DEP_1) | instskip(NEXT) | instid1(VALU_DEP_1)
	v_lshrrev_b32_e32 v10, 22, v10
	v_add_nc_u32_e32 v10, v1, v10
	s_delay_alu instid0(VALU_DEP_1) | instskip(NEXT) | instid1(VALU_DEP_1)
	v_ashrrev_i32_e32 v98, 10, v10
	v_sub_nc_u32_e32 v102, v98, v51
	s_delay_alu instid0(VALU_DEP_1)
	v_cmpx_lt_i32_e32 0, v102
	s_cbranch_execz .LBB8_201
; %bb.197:                              ;   in Loop: Header=BB8_107 Depth=1
	s_cbranch_execnz .LBB8_1477
; %bb.198:                              ;   in Loop: Header=BB8_107 Depth=1
	ds_load_b64 v[10:11], v0
	ds_load_b128 v[112:115], v0
	s_mov_b32 s18, 0
	s_waitcnt lgkmcnt(1)
	v_add_co_u32 v10, vcc_lo, v10, v55
	v_add_co_ci_u32_e32 v11, vcc_lo, v11, v65, vcc_lo
	s_waitcnt lgkmcnt(0)
	v_add_co_u32 v12, vcc_lo, v112, v55
	v_add_co_ci_u32_e32 v13, vcc_lo, v113, v65, vcc_lo
	v_add_co_u32 v37, vcc_lo, v114, v55
	v_add_co_ci_u32_e32 v38, vcc_lo, v115, v65, vcc_lo
.LBB8_199:                              ;   Parent Loop BB8_107 Depth=1
                                        ; =>  This Inner Loop Header: Depth=2
	s_clause 0x1
	global_load_b128 v[112:115], v[10:11], off slc dlc
	global_load_b128 v[116:119], v[10:11], off offset:512 slc dlc
	v_sub_nc_u32_e32 v102, v102, v54
	v_add_co_u32 v10, vcc_lo, v10, v68
	v_add_co_ci_u32_e32 v11, vcc_lo, v11, v69, vcc_lo
	s_delay_alu instid0(VALU_DEP_3)
	v_cmp_gt_i32_e32 vcc_lo, 1, v102
	s_waitcnt vmcnt(1)
	global_store_b128 v[12:13], v[112:115], off glc slc dlc
	s_waitcnt vmcnt(0)
	global_store_b128 v[12:13], v[116:119], off offset:512 glc slc dlc
	s_clause 0x1
	global_store_b128 v[37:38], v[112:115], off glc slc dlc
	global_store_b128 v[37:38], v[116:119], off offset:512 glc slc dlc
	v_add_co_u32 v12, s16, v12, v68
	s_delay_alu instid0(VALU_DEP_1) | instskip(SKIP_1) | instid1(VALU_DEP_1)
	v_add_co_ci_u32_e64 v13, s16, v13, v69, s16
	v_add_co_u32 v37, s16, v37, v68
	v_add_co_ci_u32_e64 v38, s16, v38, v69, s16
	s_or_b32 s18, vcc_lo, s18
	s_delay_alu instid0(SALU_CYCLE_1)
	s_and_not1_b32 exec_lo, exec_lo, s18
	s_cbranch_execnz .LBB8_199
; %bb.200:                              ;   in Loop: Header=BB8_107 Depth=1
	s_or_b32 exec_lo, exec_lo, s18
.LBB8_201:                              ;   in Loop: Header=BB8_107 Depth=1
	s_delay_alu instid0(SALU_CYCLE_1) | instskip(SKIP_3) | instid1(VALU_DEP_1)
	s_or_b32 exec_lo, exec_lo, s17
	v_dual_mov_b32 v98, 0 :: v_dual_lshlrev_b32 v101, 10, v98
	s_mov_b32 s16, 0
	s_mov_b32 s30, exec_lo
                                        ; implicit-def: $vgpr99
                                        ; implicit-def: $vgpr100
                                        ; implicit-def: $vgpr10
	v_cmpx_ne_u32_e64 v1, v101
	s_cbranch_execz .LBB8_212
; %bb.202:                              ;   in Loop: Header=BB8_107 Depth=1
	v_lshlrev_b32_e32 v10, 5, v102
	v_sub_nc_u32_e32 v12, v1, v101
	s_mov_b32 s31, exec_lo
	s_delay_alu instid0(VALU_DEP_2) | instskip(NEXT) | instid1(VALU_DEP_2)
	v_sub_nc_u32_e32 v10, v53, v10
	v_ashrrev_i32_e32 v13, 31, v12
	s_delay_alu instid0(VALU_DEP_2) | instskip(NEXT) | instid1(VALU_DEP_2)
	v_ashrrev_i32_e32 v11, 31, v10
	v_lshrrev_b32_e32 v13, 23, v13
	s_delay_alu instid0(VALU_DEP_2) | instskip(NEXT) | instid1(VALU_DEP_2)
	v_lshrrev_b32_e32 v11, 27, v11
	v_add_nc_u32_e32 v13, v12, v13
	s_delay_alu instid0(VALU_DEP_2) | instskip(NEXT) | instid1(VALU_DEP_2)
	v_add_nc_u32_e32 v11, v10, v11
	v_and_b32_e32 v102, 0xfffffe00, v13
	v_ashrrev_i32_e32 v13, 9, v13
	s_delay_alu instid0(VALU_DEP_3) | instskip(NEXT) | instid1(VALU_DEP_3)
	v_and_b32_e32 v37, 0xffffffe0, v11
	v_sub_nc_u32_e32 v112, v12, v102
	v_ashrrev_i32_e32 v11, 5, v11
	s_delay_alu instid0(VALU_DEP_3) | instskip(NEXT) | instid1(VALU_DEP_3)
	v_sub_nc_u32_e32 v103, v10, v37
	v_cmp_lt_i32_e64 s16, 15, v112
	s_delay_alu instid0(VALU_DEP_2) | instskip(NEXT) | instid1(VALU_DEP_2)
	v_lshlrev_b32_e32 v10, 4, v103
	v_add_co_ci_u32_e64 v13, vcc_lo, 0, v13, s16
	s_delay_alu instid0(VALU_DEP_2) | instskip(NEXT) | instid1(VALU_DEP_2)
	v_lshl_add_u32 v10, v11, 9, v10
	v_sub_nc_u32_e32 v113, v13, v11
	s_delay_alu instid0(VALU_DEP_2) | instskip(NEXT) | instid1(VALU_DEP_1)
	v_sub_nc_u32_e32 v98, v12, v10
	v_cmpx_lt_i32_e32 15, v98
	s_cbranch_execz .LBB8_209
; %bb.203:                              ;   in Loop: Header=BB8_107 Depth=1
	s_cbranch_execnz .LBB8_1529
; %bb.204:                              ;   in Loop: Header=BB8_107 Depth=1
	ds_load_b64 v[11:12], v0
	ds_load_b128 v[114:117], v0
	v_add_nc_u32_e32 v10, v10, v101
	s_mov_b32 s34, 0
	s_delay_alu instid0(VALU_DEP_1) | instskip(SKIP_2) | instid1(VALU_DEP_2)
	v_ashrrev_i32_e32 v13, 31, v10
	s_waitcnt lgkmcnt(1)
	v_add_co_u32 v37, vcc_lo, v11, v10
	v_add_co_ci_u32_e32 v38, vcc_lo, v12, v13, vcc_lo
	s_waitcnt lgkmcnt(0)
	v_add_co_u32 v99, vcc_lo, v114, v10
	v_add_co_ci_u32_e32 v100, vcc_lo, v115, v13, vcc_lo
	v_add_co_u32 v114, vcc_lo, v116, v10
	v_add_co_ci_u32_e32 v115, vcc_lo, v117, v13, vcc_lo
.LBB8_205:                              ;   Parent Loop BB8_107 Depth=1
                                        ; =>  This Loop Header: Depth=2
                                        ;       Child Loop BB8_206 Depth 3
	global_load_b128 v[10:13], v[37:38], off slc dlc
	s_mov_b64 s[18:19], 0
	s_mov_b32 s17, -1
.LBB8_206:                              ;   Parent Loop BB8_107 Depth=1
                                        ;     Parent Loop BB8_205 Depth=2
                                        ; =>    This Inner Loop Header: Depth=3
	s_cmp_eq_u32 s18, 0
	v_cndmask_b32_e64 v118, 0, 1, s17
	s_cselect_b32 vcc_lo, -1, 0
	s_cmp_eq_u32 s18, 1
	s_cselect_b32 s17, -1, 0
	s_delay_alu instid0(SALU_CYCLE_1) | instskip(SKIP_1) | instid1(VALU_DEP_2)
	v_cndmask_b32_e64 v116, v99, v114, s17
	v_cndmask_b32_e64 v117, v100, v115, s17
	v_add_co_u32 v119, s18, 0x200, v116
	s_delay_alu instid0(VALU_DEP_1) | instskip(SKIP_1) | instid1(VALU_DEP_3)
	v_add_co_ci_u32_e64 v128, s18, 0, v117, s18
	v_cmp_ne_u32_e64 s18, 1, v118
	v_cndmask_b32_e64 v114, v114, v119, s17
	v_cndmask_b32_e32 v99, v99, v119, vcc_lo
	s_delay_alu instid0(VALU_DEP_4)
	v_cndmask_b32_e64 v115, v115, v128, s17
	v_cndmask_b32_e32 v100, v100, v128, vcc_lo
	s_mov_b32 s17, 0
	s_and_b32 vcc_lo, exec_lo, s18
	s_mov_b64 s[18:19], 1
	s_waitcnt vmcnt(0)
	global_store_b128 v[116:117], v[10:13], off glc slc dlc
	s_cbranch_vccz .LBB8_206
; %bb.207:                              ;   in Loop: Header=BB8_205 Depth=2
	v_add_co_u32 v99, vcc_lo, v99, v66
	v_sub_nc_u32_e32 v98, v98, v64
	v_add_co_ci_u32_e32 v100, vcc_lo, v100, v70, vcc_lo
	v_add_co_u32 v114, vcc_lo, v114, v66
	v_add_co_ci_u32_e32 v115, vcc_lo, v115, v70, vcc_lo
	s_delay_alu instid0(VALU_DEP_4) | instskip(SKIP_1) | instid1(VALU_DEP_1)
	v_cmp_gt_i32_e32 vcc_lo, 16, v98
	v_add_co_u32 v37, s17, v80, v37
	v_add_co_ci_u32_e64 v38, s17, v81, v38, s17
	v_sub_nc_u32_e32 v113, v113, v54
	s_or_b32 s34, vcc_lo, s34
	s_delay_alu instid0(SALU_CYCLE_1)
	s_and_not1_b32 exec_lo, exec_lo, s34
	s_cbranch_execnz .LBB8_205
; %bb.208:                              ;   in Loop: Header=BB8_107 Depth=1
	s_or_b32 exec_lo, exec_lo, s34
.LBB8_209:                              ;   in Loop: Header=BB8_107 Depth=1
	s_delay_alu instid0(SALU_CYCLE_1) | instskip(SKIP_3) | instid1(VALU_DEP_1)
	s_or_b32 exec_lo, exec_lo, s31
	v_dual_mov_b32 v98, 0 :: v_dual_and_b32 v11, 15, v1
	s_mov_b32 s17, 0
	s_mov_b32 s18, exec_lo
                                        ; implicit-def: $vgpr100
                                        ; implicit-def: $vgpr10
	v_cndmask_b32_e64 v99, v112, v11, s16
	s_delay_alu instid0(VALU_DEP_1)
	v_cmpx_ne_u32_e32 0, v99
	s_cbranch_execz .LBB8_211
; %bb.210:                              ;   in Loop: Header=BB8_107 Depth=1
	v_cmp_lt_i32_e32 vcc_lo, 0, v113
	v_sub_nc_u32_e32 v11, v112, v11
	s_mov_b32 s17, exec_lo
	v_cndmask_b32_e32 v10, 0, v54, vcc_lo
	s_delay_alu instid0(VALU_DEP_2) | instskip(NEXT) | instid1(VALU_DEP_2)
	v_cndmask_b32_e64 v11, 0, v11, s16
	v_sub_nc_u32_e32 v10, v10, v113
	s_delay_alu instid0(VALU_DEP_2) | instskip(NEXT) | instid1(VALU_DEP_2)
	v_add3_u32 v98, v102, v101, v11
	v_lshl_add_u32 v100, v10, 5, v103
	s_delay_alu instid0(VALU_DEP_1) | instskip(NEXT) | instid1(VALU_DEP_1)
	v_ashrrev_i32_e32 v10, 31, v100
	v_lshrrev_b32_e32 v10, 27, v10
	s_delay_alu instid0(VALU_DEP_1) | instskip(NEXT) | instid1(VALU_DEP_1)
	v_add_nc_u32_e32 v10, v100, v10
	v_ashrrev_i32_e32 v10, 5, v10
.LBB8_211:                              ;   in Loop: Header=BB8_107 Depth=1
	s_or_b32 exec_lo, exec_lo, s18
	s_delay_alu instid0(SALU_CYCLE_1)
	s_and_b32 s16, s17, exec_lo
.LBB8_212:                              ;   in Loop: Header=BB8_107 Depth=1
	s_or_b32 exec_lo, exec_lo, s30
.LBB8_213:                              ;   in Loop: Header=BB8_107 Depth=1
	s_and_saveexec_b32 s30, s16
	s_cbranch_execz .LBB8_226
; %bb.214:                              ;   in Loop: Header=BB8_107 Depth=1
	v_ashrrev_i32_e32 v11, 31, v99
	s_mov_b32 s17, exec_lo
	s_delay_alu instid0(VALU_DEP_1) | instskip(NEXT) | instid1(VALU_DEP_1)
	v_lshrrev_b32_e32 v11, 23, v11
	v_add_nc_u32_e32 v11, v99, v11
	s_delay_alu instid0(VALU_DEP_1) | instskip(NEXT) | instid1(VALU_DEP_1)
	v_ashrrev_i32_e32 v102, 9, v11
	v_sub_nc_u32_e32 v101, v102, v10
	s_delay_alu instid0(VALU_DEP_1)
	v_cmpx_lt_i32_e32 0, v101
	s_cbranch_execz .LBB8_219
; %bb.215:                              ;   in Loop: Header=BB8_107 Depth=1
	s_cbranch_execnz .LBB8_1467
; %bb.216:                              ;   in Loop: Header=BB8_107 Depth=1
	v_ashrrev_i32_e32 v11, 31, v100
	v_lshlrev_b32_e32 v10, 9, v10
	s_mov_b32 s18, 0
	ds_load_b128 v[112:115], v0
	v_lshrrev_b32_e32 v11, 27, v11
	s_delay_alu instid0(VALU_DEP_1) | instskip(SKIP_2) | instid1(VALU_DEP_1)
	v_add_nc_u32_e32 v13, v100, v11
	ds_load_b64 v[11:12], v0
	v_and_b32_e32 v13, 0xffffffe0, v13
	v_sub_nc_u32_e32 v13, v100, v13
	s_delay_alu instid0(VALU_DEP_1) | instskip(NEXT) | instid1(VALU_DEP_1)
	v_add3_u32 v37, v98, v13, v10
	v_ashrrev_i32_e32 v38, 31, v37
	s_waitcnt lgkmcnt(0)
	v_add_co_u32 v103, vcc_lo, 0x1e0, v11
	v_add_co_ci_u32_e32 v116, vcc_lo, 0, v12, vcc_lo
	v_add_co_u32 v10, vcc_lo, v112, v37
	v_add_co_ci_u32_e32 v11, vcc_lo, v113, v38, vcc_lo
	;; [unrolled: 2-line block ×4, first 2 shown]
.LBB8_217:                              ;   Parent Loop BB8_107 Depth=1
                                        ; =>  This Inner Loop Header: Depth=2
	s_delay_alu instid0(VALU_DEP_2) | instskip(NEXT) | instid1(VALU_DEP_2)
	v_add_co_u32 v112, vcc_lo, 0xfffffe20, v37
	v_add_co_ci_u32_e32 v113, vcc_lo, -1, v38, vcc_lo
	v_add_co_u32 v114, vcc_lo, 0xfffffe40, v37
	v_add_co_ci_u32_e32 v115, vcc_lo, -1, v38, vcc_lo
	;; [unrolled: 2-line block ×15, first 2 shown]
	flat_load_u8 v103, v[37:38] slc dlc
	flat_load_u8 v112, v[112:113] slc dlc
	;; [unrolled: 1-line block ×16, first 2 shown]
	v_sub_nc_u32_e32 v101, v101, v54
	v_add_co_u32 v37, vcc_lo, v37, v80
	v_add_co_ci_u32_e32 v38, vcc_lo, v38, v81, vcc_lo
	s_delay_alu instid0(VALU_DEP_3)
	v_cmp_gt_i32_e32 vcc_lo, 1, v101
	s_waitcnt vmcnt(14) lgkmcnt(14)
	flat_store_b8 v[10:11], v112 glc slc dlc
	s_waitcnt vmcnt(13) lgkmcnt(14)
	flat_store_b8 v[10:11], v113 offset:32 glc slc dlc
	s_waitcnt vmcnt(12) lgkmcnt(14)
	flat_store_b8 v[10:11], v114 offset:64 glc slc dlc
	;; [unrolled: 2-line block ×13, first 2 shown]
	s_waitcnt vmcnt(0) lgkmcnt(14)
	s_clause 0x1
	flat_store_b8 v[10:11], v134 offset:448 glc slc dlc
	flat_store_b8 v[10:11], v103 offset:480 glc slc dlc
	s_clause 0xf
	flat_store_b8 v[12:13], v112 glc slc dlc
	flat_store_b8 v[12:13], v113 offset:32 glc slc dlc
	flat_store_b8 v[12:13], v114 offset:64 glc slc dlc
	;; [unrolled: 1-line block ×15, first 2 shown]
	v_add_co_u32 v10, s16, v10, v80
	s_delay_alu instid0(VALU_DEP_1) | instskip(SKIP_1) | instid1(VALU_DEP_1)
	v_add_co_ci_u32_e64 v11, s16, v11, v81, s16
	v_add_co_u32 v12, s16, v12, v80
	v_add_co_ci_u32_e64 v13, s16, v13, v81, s16
	s_or_b32 s18, vcc_lo, s18
	s_delay_alu instid0(SALU_CYCLE_1)
	s_and_not1_b32 exec_lo, exec_lo, s18
	s_cbranch_execnz .LBB8_217
; %bb.218:                              ;   in Loop: Header=BB8_107 Depth=1
	s_or_b32 exec_lo, exec_lo, s18
.LBB8_219:                              ;   in Loop: Header=BB8_107 Depth=1
	s_delay_alu instid0(SALU_CYCLE_1) | instskip(SKIP_1) | instid1(VALU_DEP_1)
	s_or_b32 exec_lo, exec_lo, s17
	v_lshlrev_b32_e32 v10, 9, v102
	v_cmp_ne_u32_e32 vcc_lo, v99, v10
	s_and_b32 exec_lo, exec_lo, vcc_lo
	s_cbranch_execz .LBB8_226
; %bb.220:                              ;   in Loop: Header=BB8_107 Depth=1
	v_ashrrev_i32_e32 v11, 31, v100
	v_lshlrev_b32_e32 v12, 5, v101
	s_delay_alu instid0(VALU_DEP_2) | instskip(NEXT) | instid1(VALU_DEP_1)
	v_lshrrev_b32_e32 v11, 27, v11
	v_add_nc_u32_e32 v11, v100, v11
	s_delay_alu instid0(VALU_DEP_1) | instskip(NEXT) | instid1(VALU_DEP_1)
	v_and_b32_e32 v11, 0xffffffe0, v11
	v_sub_nc_u32_e32 v11, v100, v11
	s_delay_alu instid0(VALU_DEP_1) | instskip(NEXT) | instid1(VALU_DEP_1)
	v_sub_nc_u32_e32 v11, v11, v12
	v_add_nc_u32_e32 v10, v10, v11
	s_delay_alu instid0(VALU_DEP_1) | instskip(NEXT) | instid1(VALU_DEP_1)
	v_sub_nc_u32_e32 v12, v99, v10
	v_cmp_lt_i32_e32 vcc_lo, 0, v12
	s_and_b32 exec_lo, exec_lo, vcc_lo
	s_cbranch_execz .LBB8_226
; %bb.221:                              ;   in Loop: Header=BB8_107 Depth=1
	s_cbranch_execnz .LBB8_1517
; %bb.222:                              ;   in Loop: Header=BB8_107 Depth=1
	ds_load_b64 v[37:38], v0
	ds_load_b128 v[99:102], v0
	v_add_nc_u32_e32 v98, v10, v98
	s_mov_b32 s31, 0
	s_delay_alu instid0(VALU_DEP_1) | instskip(SKIP_2) | instid1(VALU_DEP_2)
	v_ashrrev_i32_e32 v103, 31, v98
	s_waitcnt lgkmcnt(1)
	v_add_co_u32 v10, vcc_lo, v37, v98
	v_add_co_ci_u32_e32 v11, vcc_lo, v38, v103, vcc_lo
	s_waitcnt lgkmcnt(0)
	v_add_co_u32 v13, vcc_lo, v99, v98
	v_add_co_ci_u32_e32 v37, vcc_lo, v100, v103, vcc_lo
	v_add_co_u32 v38, vcc_lo, v101, v98
	v_add_co_ci_u32_e32 v98, vcc_lo, v102, v103, vcc_lo
	s_set_inst_prefetch_distance 0x1
.LBB8_223:                              ;   Parent Loop BB8_107 Depth=1
                                        ; =>  This Loop Header: Depth=2
                                        ;       Child Loop BB8_224 Depth 3
	flat_load_u8 v99, v[10:11] slc dlc
	s_mov_b64 s[18:19], 0
	s_mov_b32 s34, -1
.LBB8_224:                              ;   Parent Loop BB8_107 Depth=1
                                        ;     Parent Loop BB8_223 Depth=2
                                        ; =>    This Inner Loop Header: Depth=3
	s_cmp_eq_u32 s18, 1
	s_cselect_b32 vcc_lo, -1, 0
	s_cmp_eq_u32 s18, 0
	v_cndmask_b32_e32 v100, v13, v38, vcc_lo
	v_cndmask_b32_e32 v101, v37, v98, vcc_lo
	s_mov_b64 s[18:19], 1
	s_delay_alu instid0(VALU_DEP_2) | instskip(NEXT) | instid1(VALU_DEP_1)
	v_add_co_u32 v102, s16, v100, 32
	v_add_co_ci_u32_e64 v103, s16, 0, v101, s16
	s_cselect_b32 s16, -1, 0
	s_delay_alu instid0(VALU_DEP_2) | instskip(SKIP_1) | instid1(VALU_DEP_3)
	v_cndmask_b32_e32 v38, v38, v102, vcc_lo
	v_cndmask_b32_e64 v13, v13, v102, s16
	v_cndmask_b32_e32 v98, v98, v103, vcc_lo
	v_cndmask_b32_e64 v37, v37, v103, s16
	s_and_b32 s17, exec_lo, s34
	s_mov_b32 s34, 0
	s_mov_b32 vcc_lo, s17
	s_waitcnt vmcnt(0) lgkmcnt(0)
	flat_store_b8 v[100:101], v99 glc slc dlc
	s_cbranch_vccnz .LBB8_224
; %bb.225:                              ;   in Loop: Header=BB8_223 Depth=2
	v_add_co_u32 v13, vcc_lo, v13, v71
	v_sub_nc_u32_e32 v12, v12, v67
	v_add_co_ci_u32_e32 v37, vcc_lo, v37, v82, vcc_lo
	v_add_co_u32 v38, vcc_lo, v38, v71
	v_add_co_ci_u32_e32 v98, vcc_lo, v98, v82, vcc_lo
	s_delay_alu instid0(VALU_DEP_4) | instskip(SKIP_1) | instid1(VALU_DEP_1)
	v_cmp_gt_i32_e32 vcc_lo, 1, v12
	v_add_co_u32 v10, s16, v84, v10
	v_add_co_ci_u32_e64 v11, s16, v85, v11, s16
	s_or_b32 s31, vcc_lo, s31
	s_delay_alu instid0(SALU_CYCLE_1)
	s_and_not1_b32 exec_lo, exec_lo, s31
	s_cbranch_execnz .LBB8_223
.LBB8_226:                              ;   in Loop: Header=BB8_107 Depth=1
	s_set_inst_prefetch_distance 0x2
	s_or_b32 exec_lo, exec_lo, s30
	s_mov_b32 s16, 0
	s_branch .LBB8_228
.LBB8_227:                              ;   in Loop: Header=BB8_107 Depth=1
	s_mov_b32 s16, -1
.LBB8_228:                              ;   in Loop: Header=BB8_107 Depth=1
	s_delay_alu instid0(SALU_CYCLE_1)
	s_and_b32 vcc_lo, exec_lo, s16
	s_cbranch_vccz .LBB8_261
; %bb.229:                              ;   in Loop: Header=BB8_107 Depth=1
	s_mov_b32 s16, -1
	s_and_saveexec_b32 s17, s6
	s_cbranch_execz .LBB8_231
; %bb.230:                              ;   in Loop: Header=BB8_107 Depth=1
	ds_load_b32 v10, v0 offset:720
	s_waitcnt lgkmcnt(0)
	v_and_b32_e32 v10, 15, v10
	s_delay_alu instid0(VALU_DEP_1)
	v_cmp_eq_u32_e32 vcc_lo, 0, v10
	s_or_not1_b32 s16, vcc_lo, exec_lo
.LBB8_231:                              ;   in Loop: Header=BB8_107 Depth=1
	s_or_b32 exec_lo, exec_lo, s17
	s_and_saveexec_b32 s17, s10
	s_cbranch_execz .LBB8_233
; %bb.232:                              ;   in Loop: Header=BB8_107 Depth=1
	ds_load_b32 v10, v0 offset:784
	s_waitcnt lgkmcnt(0)
	v_and_b32_e32 v10, 15, v10
	s_delay_alu instid0(VALU_DEP_1) | instskip(SKIP_3) | instid1(SALU_CYCLE_1)
	v_cmp_eq_u32_e32 vcc_lo, 0, v10
	s_and_b32 s18, s16, vcc_lo
	s_and_not1_b32 s16, s16, exec_lo
	s_and_b32 s18, s18, exec_lo
	s_or_b32 s16, s16, s18
.LBB8_233:                              ;   in Loop: Header=BB8_107 Depth=1
	s_or_b32 exec_lo, exec_lo, s17
	s_xor_b32 s16, s16, -1
	v_dual_mov_b32 v38, 0 :: v_dual_mov_b32 v37, v1
	v_cndmask_b32_e64 v10, 0, 1, s16
	;;#ASMSTART
	;;#ASMEND
	s_delay_alu instid0(VALU_DEP_1)
	v_cmp_ne_u32_e32 vcc_lo, 0, v10
	v_dual_mov_b32 v98, v0 :: v_dual_mov_b32 v101, v51
	s_mov_b32 s16, -1
	s_cbranch_vccnz .LBB8_249
; %bb.234:                              ;   in Loop: Header=BB8_107 Depth=1
	v_ashrrev_i32_e32 v10, 31, v1
	s_mov_b32 s17, exec_lo
	s_delay_alu instid0(VALU_DEP_1) | instskip(NEXT) | instid1(VALU_DEP_1)
	v_lshrrev_b32_e32 v10, 21, v10
	v_add_nc_u32_e32 v10, v1, v10
	s_delay_alu instid0(VALU_DEP_1) | instskip(NEXT) | instid1(VALU_DEP_1)
	v_ashrrev_i32_e32 v37, 11, v10
	v_sub_nc_u32_e32 v99, v37, v51
	s_delay_alu instid0(VALU_DEP_1)
	v_cmpx_lt_i32_e32 0, v99
	s_cbranch_execz .LBB8_239
; %bb.235:                              ;   in Loop: Header=BB8_107 Depth=1
	s_cbranch_execnz .LBB8_1489
; %bb.236:                              ;   in Loop: Header=BB8_107 Depth=1
	ds_load_b64 v[10:11], v0
	s_mov_b32 s18, 0
	s_waitcnt lgkmcnt(0)
	v_dual_mov_b32 v13, v11 :: v_dual_mov_b32 v12, v10
	s_set_inst_prefetch_distance 0x1
.LBB8_237:                              ;   Parent Loop BB8_107 Depth=1
                                        ; =>  This Inner Loop Header: Depth=2
	s_delay_alu instid0(VALU_DEP_1) | instskip(NEXT) | instid1(VALU_DEP_2)
	v_add_co_u32 v128, vcc_lo, v83, v12
	v_add_co_ci_u32_e32 v129, vcc_lo, v86, v13, vcc_lo
	v_add_co_u32 v132, vcc_lo, v83, v10
	v_sub_nc_u32_e32 v99, v99, v54
	s_clause 0x3
	global_load_b128 v[100:103], v[128:129], off slc dlc
	global_load_b128 v[112:115], v[128:129], off offset:512 slc dlc
	global_load_b128 v[116:119], v[128:129], off offset:1024 slc dlc
	;; [unrolled: 1-line block ×3, first 2 shown]
	v_add_co_ci_u32_e32 v133, vcc_lo, v86, v11, vcc_lo
	v_add_co_u32 v12, vcc_lo, v12, v87
	v_add_co_ci_u32_e32 v13, vcc_lo, v13, v96, vcc_lo
	v_add_co_u32 v10, vcc_lo, v10, v87
	v_cmp_gt_i32_e64 s16, 1, v99
	v_add_co_ci_u32_e32 v11, vcc_lo, v11, v96, vcc_lo
	s_waitcnt vmcnt(3)
	global_store_b128 v[132:133], v[100:103], off glc slc dlc
	s_waitcnt vmcnt(2)
	global_store_b128 v[132:133], v[112:115], off offset:512 glc slc dlc
	s_waitcnt vmcnt(1)
	global_store_b128 v[132:133], v[116:119], off offset:1024 glc slc dlc
	;; [unrolled: 2-line block ×3, first 2 shown]
	s_or_b32 s18, s16, s18
	s_delay_alu instid0(SALU_CYCLE_1)
	s_and_not1_b32 exec_lo, exec_lo, s18
	s_cbranch_execnz .LBB8_237
; %bb.238:                              ;   in Loop: Header=BB8_107 Depth=1
	s_set_inst_prefetch_distance 0x2
	s_or_b32 exec_lo, exec_lo, s18
.LBB8_239:                              ;   in Loop: Header=BB8_107 Depth=1
	s_delay_alu instid0(SALU_CYCLE_1) | instskip(SKIP_4) | instid1(VALU_DEP_2)
	s_or_b32 exec_lo, exec_lo, s17
	v_lshlrev_b32_e32 v12, 11, v37
	v_mov_b32_e32 v38, 0
	s_mov_b32 s16, 0
	s_mov_b32 s18, exec_lo
                                        ; implicit-def: $vgpr37
                                        ; implicit-def: $vgpr98
                                        ; implicit-def: $vgpr101
	v_cmpx_ne_u32_e64 v1, v12
	s_cbranch_execz .LBB8_248
; %bb.240:                              ;   in Loop: Header=BB8_107 Depth=1
	v_lshlrev_b32_e32 v10, 5, v99
	v_sub_nc_u32_e32 v37, v1, v12
	s_mov_b32 s19, exec_lo
	s_delay_alu instid0(VALU_DEP_2) | instskip(NEXT) | instid1(VALU_DEP_2)
	v_sub_nc_u32_e32 v10, v53, v10
	v_ashrrev_i32_e32 v13, 31, v37
	s_delay_alu instid0(VALU_DEP_2) | instskip(NEXT) | instid1(VALU_DEP_2)
	v_ashrrev_i32_e32 v11, 31, v10
	v_lshrrev_b32_e32 v13, 23, v13
	s_delay_alu instid0(VALU_DEP_2) | instskip(NEXT) | instid1(VALU_DEP_2)
	v_lshrrev_b32_e32 v11, 27, v11
	v_add_nc_u32_e32 v98, v37, v13
	s_delay_alu instid0(VALU_DEP_2) | instskip(NEXT) | instid1(VALU_DEP_2)
	v_add_nc_u32_e32 v11, v10, v11
	v_and_b32_e32 v13, 0xfffffe00, v98
	v_ashrrev_i32_e32 v98, 9, v98
	s_delay_alu instid0(VALU_DEP_3) | instskip(NEXT) | instid1(VALU_DEP_3)
	v_and_b32_e32 v38, 0xffffffe0, v11
	v_sub_nc_u32_e32 v100, v37, v13
	s_delay_alu instid0(VALU_DEP_2) | instskip(SKIP_1) | instid1(VALU_DEP_3)
	v_sub_nc_u32_e32 v99, v10, v38
	v_ashrrev_i32_e32 v10, 5, v11
	v_cmp_lt_i32_e32 vcc_lo, 15, v100
	s_delay_alu instid0(VALU_DEP_3) | instskip(NEXT) | instid1(VALU_DEP_1)
	v_lshlrev_b32_e32 v11, 4, v99
	v_lshl_add_u32 v38, v10, 9, v11
	v_add_co_ci_u32_e64 v11, s16, 0, v98, vcc_lo
	s_delay_alu instid0(VALU_DEP_2) | instskip(NEXT) | instid1(VALU_DEP_2)
	v_sub_nc_u32_e32 v37, v37, v38
	v_sub_nc_u32_e32 v102, v11, v10
	s_delay_alu instid0(VALU_DEP_2)
	v_cmpx_lt_i32_e32 15, v37
	s_cbranch_execz .LBB8_245
; %bb.241:                              ;   in Loop: Header=BB8_107 Depth=1
	s_cbranch_execnz .LBB8_1539
; %bb.242:                              ;   in Loop: Header=BB8_107 Depth=1
	ds_load_b64 v[10:11], v0
	v_add_nc_u32_e32 v38, v38, v12
	s_mov_b32 s30, 0
	s_delay_alu instid0(VALU_DEP_1)
	v_ashrrev_i32_e32 v98, 31, v38
.LBB8_243:                              ;   Parent Loop BB8_107 Depth=1
                                        ; =>  This Inner Loop Header: Depth=2
	s_waitcnt lgkmcnt(0)
	v_add_co_u32 v116, s16, v10, v38
	s_delay_alu instid0(VALU_DEP_1)
	v_add_co_ci_u32_e64 v117, s16, v11, v98, s16
	v_sub_nc_u32_e32 v37, v37, v64
	v_add_co_u32 v38, s17, v38, v80
	global_load_b128 v[112:115], v[116:117], off slc dlc
	v_sub_nc_u32_e32 v102, v102, v54
	v_cmp_gt_i32_e64 s16, 16, v37
	v_add_co_ci_u32_e64 v98, s17, v98, v81, s17
	s_delay_alu instid0(VALU_DEP_2)
	s_or_b32 s30, s16, s30
	s_waitcnt vmcnt(0)
	global_store_b128 v[116:117], v[112:115], off glc slc dlc
	s_and_not1_b32 exec_lo, exec_lo, s30
	s_cbranch_execnz .LBB8_243
; %bb.244:                              ;   in Loop: Header=BB8_107 Depth=1
	s_or_b32 exec_lo, exec_lo, s30
.LBB8_245:                              ;   in Loop: Header=BB8_107 Depth=1
	s_delay_alu instid0(SALU_CYCLE_1) | instskip(SKIP_3) | instid1(VALU_DEP_1)
	s_or_b32 exec_lo, exec_lo, s19
	v_and_b32_e32 v10, 15, v1
	s_mov_b32 s17, 0
	s_mov_b32 s19, exec_lo
                                        ; implicit-def: $vgpr98
                                        ; implicit-def: $vgpr101
	v_dual_mov_b32 v38, 0 :: v_dual_cndmask_b32 v37, v100, v10
	s_delay_alu instid0(VALU_DEP_1)
	v_cmpx_ne_u32_e32 0, v37
; %bb.246:                              ;   in Loop: Header=BB8_107 Depth=1
	v_cmp_lt_i32_e64 s16, 0, v102
	v_sub_nc_u32_e32 v10, v100, v10
	s_mov_b32 s17, exec_lo
	s_delay_alu instid0(VALU_DEP_2) | instskip(NEXT) | instid1(VALU_DEP_1)
	v_cndmask_b32_e64 v11, 0, v54, s16
	v_sub_nc_u32_e32 v11, v11, v102
	s_delay_alu instid0(VALU_DEP_1) | instskip(NEXT) | instid1(VALU_DEP_1)
	v_lshl_add_u32 v98, v11, 5, v99
	v_ashrrev_i32_e32 v11, 31, v98
	s_delay_alu instid0(VALU_DEP_1) | instskip(NEXT) | instid1(VALU_DEP_1)
	v_lshrrev_b32_e32 v11, 27, v11
	v_dual_cndmask_b32 v10, 0, v10 :: v_dual_add_nc_u32 v11, v98, v11
	s_delay_alu instid0(VALU_DEP_1) | instskip(NEXT) | instid1(VALU_DEP_2)
	v_add3_u32 v38, v13, v12, v10
	v_ashrrev_i32_e32 v101, 5, v11
; %bb.247:                              ;   in Loop: Header=BB8_107 Depth=1
	s_or_b32 exec_lo, exec_lo, s19
	s_delay_alu instid0(SALU_CYCLE_1)
	s_and_b32 s16, s17, exec_lo
.LBB8_248:                              ;   in Loop: Header=BB8_107 Depth=1
	s_or_b32 exec_lo, exec_lo, s18
.LBB8_249:                              ;   in Loop: Header=BB8_107 Depth=1
	s_and_saveexec_b32 s17, s16
	s_cbranch_execz .LBB8_260
; %bb.250:                              ;   in Loop: Header=BB8_107 Depth=1
	v_ashrrev_i32_e32 v10, 31, v37
	s_mov_b32 s16, exec_lo
	s_delay_alu instid0(VALU_DEP_1) | instskip(NEXT) | instid1(VALU_DEP_1)
	v_lshrrev_b32_e32 v10, 23, v10
	v_add_nc_u32_e32 v10, v37, v10
	s_delay_alu instid0(VALU_DEP_1) | instskip(NEXT) | instid1(VALU_DEP_1)
	v_ashrrev_i32_e32 v100, 9, v10
	v_sub_nc_u32_e32 v99, v100, v101
	s_delay_alu instid0(VALU_DEP_1)
	v_cmpx_lt_i32_e32 0, v99
	s_cbranch_execz .LBB8_255
; %bb.251:                              ;   in Loop: Header=BB8_107 Depth=1
	s_cbranch_execnz .LBB8_1485
; %bb.252:                              ;   in Loop: Header=BB8_107 Depth=1
	v_ashrrev_i32_e32 v10, 31, v98
	s_mov_b32 s18, 0
	s_delay_alu instid0(VALU_DEP_1) | instskip(NEXT) | instid1(VALU_DEP_1)
	v_lshrrev_b32_e32 v10, 27, v10
	v_add_nc_u32_e32 v12, v98, v10
	ds_load_b64 v[10:11], v0
	v_lshlrev_b32_e32 v13, 9, v101
	v_and_b32_e32 v12, 0xffffffe0, v12
	s_delay_alu instid0(VALU_DEP_1) | instskip(NEXT) | instid1(VALU_DEP_1)
	v_sub_nc_u32_e32 v12, v98, v12
	v_add3_u32 v101, v38, v12, v13
	s_delay_alu instid0(VALU_DEP_1)
	v_ashrrev_i32_e32 v102, 31, v101
	s_waitcnt lgkmcnt(0)
	v_dual_mov_b32 v13, v11 :: v_dual_mov_b32 v12, v10
.LBB8_253:                              ;   Parent Loop BB8_107 Depth=1
                                        ; =>  This Inner Loop Header: Depth=2
	s_delay_alu instid0(VALU_DEP_1) | instskip(NEXT) | instid1(VALU_DEP_2)
	v_add_co_u32 v112, vcc_lo, v101, v12
	v_add_co_ci_u32_e32 v113, vcc_lo, v102, v13, vcc_lo
	v_sub_nc_u32_e32 v99, v99, v54
	s_clause 0xf
	flat_load_u8 v103, v[112:113] slc dlc
	flat_load_u8 v114, v[112:113] offset:32 slc dlc
	flat_load_u8 v115, v[112:113] offset:64 slc dlc
	;; [unrolled: 1-line block ×15, first 2 shown]
	v_add_co_u32 v112, vcc_lo, v101, v10
	v_add_co_ci_u32_e32 v113, vcc_lo, v102, v11, vcc_lo
	v_add_co_u32 v12, vcc_lo, v12, v80
	v_add_co_ci_u32_e32 v13, vcc_lo, v13, v81, vcc_lo
	;; [unrolled: 2-line block ×3, first 2 shown]
	v_cmp_gt_i32_e32 vcc_lo, 1, v99
	s_waitcnt vmcnt(15) lgkmcnt(15)
	flat_store_b8 v[112:113], v103 glc slc dlc
	s_waitcnt vmcnt(14) lgkmcnt(15)
	flat_store_b8 v[112:113], v114 offset:32 glc slc dlc
	s_waitcnt vmcnt(13) lgkmcnt(15)
	flat_store_b8 v[112:113], v115 offset:64 glc slc dlc
	;; [unrolled: 2-line block ×15, first 2 shown]
	s_or_b32 s18, vcc_lo, s18
	s_delay_alu instid0(SALU_CYCLE_1)
	s_and_not1_b32 exec_lo, exec_lo, s18
	s_cbranch_execnz .LBB8_253
; %bb.254:                              ;   in Loop: Header=BB8_107 Depth=1
	s_or_b32 exec_lo, exec_lo, s18
.LBB8_255:                              ;   in Loop: Header=BB8_107 Depth=1
	s_delay_alu instid0(SALU_CYCLE_1) | instskip(SKIP_1) | instid1(VALU_DEP_1)
	s_or_b32 exec_lo, exec_lo, s16
	v_lshlrev_b32_e32 v10, 9, v100
	v_cmp_ne_u32_e32 vcc_lo, v37, v10
	s_and_b32 exec_lo, exec_lo, vcc_lo
	s_cbranch_execz .LBB8_260
; %bb.256:                              ;   in Loop: Header=BB8_107 Depth=1
	v_ashrrev_i32_e32 v11, 31, v98
	v_lshlrev_b32_e32 v12, 5, v99
	s_delay_alu instid0(VALU_DEP_2) | instskip(NEXT) | instid1(VALU_DEP_1)
	v_lshrrev_b32_e32 v11, 27, v11
	v_add_nc_u32_e32 v11, v98, v11
	s_delay_alu instid0(VALU_DEP_1) | instskip(NEXT) | instid1(VALU_DEP_1)
	v_and_b32_e32 v11, 0xffffffe0, v11
	v_sub_nc_u32_e32 v11, v98, v11
	s_delay_alu instid0(VALU_DEP_1) | instskip(NEXT) | instid1(VALU_DEP_1)
	v_sub_nc_u32_e32 v11, v11, v12
	v_add_nc_u32_e32 v13, v10, v11
	s_delay_alu instid0(VALU_DEP_1) | instskip(NEXT) | instid1(VALU_DEP_1)
	v_sub_nc_u32_e32 v12, v37, v13
	v_cmp_lt_i32_e32 vcc_lo, 0, v12
	s_and_b32 exec_lo, exec_lo, vcc_lo
	s_cbranch_execz .LBB8_260
; %bb.257:                              ;   in Loop: Header=BB8_107 Depth=1
	s_cbranch_execnz .LBB8_1535
; %bb.258:                              ;   in Loop: Header=BB8_107 Depth=1
	ds_load_b64 v[10:11], v0
	v_add_nc_u32_e32 v13, v13, v38
	s_mov_b32 s18, 0
	s_delay_alu instid0(VALU_DEP_1)
	v_ashrrev_i32_e32 v37, 31, v13
.LBB8_259:                              ;   Parent Loop BB8_107 Depth=1
                                        ; =>  This Inner Loop Header: Depth=2
	s_waitcnt lgkmcnt(0)
	v_add_co_u32 v98, vcc_lo, v10, v13
	s_delay_alu instid0(VALU_DEP_2)
	v_add_co_ci_u32_e32 v99, vcc_lo, v11, v37, vcc_lo
	v_sub_nc_u32_e32 v12, v12, v67
	v_add_co_u32 v13, s16, v13, v84
	flat_load_u8 v38, v[98:99] slc dlc
	v_add_co_ci_u32_e64 v37, s16, v37, v85, s16
	v_cmp_gt_i32_e32 vcc_lo, 1, v12
	s_or_b32 s18, vcc_lo, s18
	s_waitcnt vmcnt(0) lgkmcnt(0)
	flat_store_b8 v[98:99], v38 glc slc dlc
	s_and_not1_b32 exec_lo, exec_lo, s18
	s_cbranch_execnz .LBB8_259
.LBB8_260:                              ;   in Loop: Header=BB8_107 Depth=1
	s_or_b32 exec_lo, exec_lo, s17
.LBB8_261:                              ;   in Loop: Header=BB8_107 Depth=1
	v_cmp_lt_i32_e64 s16, 0, v1
.LBB8_262:                              ;   in Loop: Header=BB8_107 Depth=1
	s_and_saveexec_b32 s17, s3
	s_cbranch_execz .LBB8_284
; %bb.263:                              ;   in Loop: Header=BB8_107 Depth=1
	s_and_saveexec_b32 s18, s4
	s_delay_alu instid0(SALU_CYCLE_1)
	s_xor_b32 s18, exec_lo, s18
	s_cbranch_execz .LBB8_281
; %bb.264:                              ;   in Loop: Header=BB8_107 Depth=1
	s_and_saveexec_b32 s19, s5
	s_cbranch_execz .LBB8_280
; %bb.265:                              ;   in Loop: Header=BB8_107 Depth=1
	s_mov_b32 s31, exec_lo
	s_mov_b32 s30, exec_lo
	v_mbcnt_lo_u32_b32 v1, s31, 0
	s_waitcnt lgkmcnt(0)
	s_waitcnt_vscnt null, 0x0
	buffer_gl1_inv
	buffer_gl0_inv
	v_cmpx_eq_u32_e32 0, v1
	s_cbranch_execz .LBB8_267
; %bb.266:                              ;   in Loop: Header=BB8_107 Depth=1
	s_bcnt1_i32_b32 vcc_lo, s31
	s_delay_alu instid0(SALU_CYCLE_1)
	v_mov_b32_e32 v1, vcc_lo
	ds_add_u64 v0, v[1:2]
	s_cbranch_execnz .LBB8_1451
.LBB8_267:                              ;   in Loop: Header=BB8_107 Depth=1
	s_or_b32 exec_lo, exec_lo, s30
	s_cbranch_execnz .LBB8_1394
; %bb.268:                              ;   in Loop: Header=BB8_107 Depth=1
	ds_load_b64 v[10:11], v0
	v_add_co_u32 v24, vcc_lo, v24, v54
	v_add_co_ci_u32_e32 v25, vcc_lo, 0, v25, vcc_lo
	s_mov_b32 s30, exec_lo
	s_waitcnt lgkmcnt(0)
	s_delay_alu instid0(VALU_DEP_1)
	v_cmpx_lt_u64_e64 v[10:11], v[24:25]
	s_cbranch_execz .LBB8_279
; %bb.269:                              ;   in Loop: Header=BB8_107 Depth=1
	s_mov_b32 s31, 0
	s_mov_b32 s36, 0
                                        ; implicit-def: $sgpr34
                                        ; implicit-def: $sgpr35
	s_branch .LBB8_271
.LBB8_270:                              ;   in Loop: Header=BB8_271 Depth=2
	s_or_b32 exec_lo, exec_lo, s38
	s_delay_alu instid0(SALU_CYCLE_1) | instskip(NEXT) | instid1(SALU_CYCLE_1)
	s_and_b32 vcc_lo, exec_lo, vcc_lo
	s_or_b32 s31, vcc_lo, s31
	s_and_not1_b32 vcc_lo, s34, exec_lo
	s_and_b32 s34, s35, exec_lo
	s_delay_alu instid0(SALU_CYCLE_1)
	s_or_b32 s34, vcc_lo, s34
	s_and_not1_b32 exec_lo, exec_lo, s31
	s_cbranch_execz .LBB8_277
.LBB8_271:                              ;   Parent Loop BB8_107 Depth=1
                                        ; =>  This Inner Loop Header: Depth=2
	s_add_i32 s36, s36, 1
                                        ; implicit-def: $sgpr38
	s_delay_alu instid0(SALU_CYCLE_1) | instskip(SKIP_1) | instid1(SALU_CYCLE_1)
	s_cmpk_lg_i32 s36, 0x2710
	s_cselect_b32 s37, -1, 0
	s_and_b32 vcc_lo, exec_lo, s37
	s_cbranch_vccz .LBB8_275
.LBB8_272:                              ;   in Loop: Header=BB8_271 Depth=2
	s_and_not1_b32 s35, s35, exec_lo
	s_and_b32 s38, s38, exec_lo
	s_mov_b32 vcc_lo, -1
	s_or_b32 s35, s35, s38
	s_and_saveexec_b32 s38, s37
	s_cbranch_execz .LBB8_270
; %bb.273:                              ;   in Loop: Header=BB8_271 Depth=2
	s_sleep 1
	s_cbranch_execnz .LBB8_1497
; %bb.274:                              ;   in Loop: Header=BB8_271 Depth=2
	ds_load_b64 v[10:11], v0
	s_and_not1_b32 s35, s35, exec_lo
	s_waitcnt lgkmcnt(0)
	v_cmp_ge_u64_e32 vcc_lo, v[10:11], v[24:25]
	s_or_not1_b32 vcc_lo, vcc_lo, exec_lo
	s_branch .LBB8_270
.LBB8_275:                              ;   in Loop: Header=BB8_271 Depth=2
	s_cbranch_execnz .LBB8_1511
; %bb.276:                              ;   in Loop: Header=BB8_271 Depth=2
	ds_load_b64 v[10:11], v0
	s_and_not1_b32 s37, s37, exec_lo
	s_mov_b32 s36, 0
	s_mov_b32 s38, -1
	s_waitcnt lgkmcnt(0)
	flat_load_b32 v1, v[10:11] glc
	s_waitcnt vmcnt(0) lgkmcnt(0)
	buffer_gl1_inv
	buffer_gl0_inv
	v_cmp_eq_u32_e32 vcc_lo, 0, v1
	s_and_b32 vcc_lo, vcc_lo, exec_lo
	s_delay_alu instid0(SALU_CYCLE_1)
	s_or_b32 s37, s37, vcc_lo
	s_branch .LBB8_272
.LBB8_277:                              ;   in Loop: Header=BB8_107 Depth=1
	s_or_b32 exec_lo, exec_lo, s31
	s_and_saveexec_b32 vcc_lo, s34
	s_delay_alu instid0(SALU_CYCLE_1)
	s_xor_b32 vcc_lo, exec_lo, vcc_lo
	s_cbranch_execz .LBB8_279
; %bb.278:                              ;   in Loop: Header=BB8_107 Depth=1
	ds_store_b32 v0, v97
	s_cbranch_execnz .LBB8_1579
.LBB8_279:                              ;   in Loop: Header=BB8_107 Depth=1
	s_or_b32 exec_lo, exec_lo, s30
	;;#ASMSTART
	s_wakeup
	;;#ASMEND
.LBB8_280:                              ;   in Loop: Header=BB8_107 Depth=1
	s_or_b32 exec_lo, exec_lo, s19
.LBB8_281:                              ;   in Loop: Header=BB8_107 Depth=1
	s_and_not1_saveexec_b32 s18, s18
	s_cbranch_execz .LBB8_283
; %bb.282:                              ;   in Loop: Header=BB8_107 Depth=1
	s_waitcnt lgkmcnt(0)
	s_waitcnt_vscnt null, 0x0
	buffer_gl1_inv
	buffer_gl0_inv
	s_barrier
.LBB8_283:                              ;   in Loop: Header=BB8_107 Depth=1
	s_or_b32 exec_lo, exec_lo, s18
.LBB8_284:                              ;   in Loop: Header=BB8_107 Depth=1
	s_delay_alu instid0(SALU_CYCLE_1) | instskip(SKIP_1) | instid1(SALU_CYCLE_1)
	s_or_b32 exec_lo, exec_lo, s17
                                        ; implicit-def: $vgpr1
	s_and_saveexec_b32 s17, s11
	s_xor_b32 s17, exec_lo, s17
	s_cbranch_execz .LBB8_288
; %bb.285:                              ;   in Loop: Header=BB8_107 Depth=1
	v_and_b32_e32 v1, 16, v48
	s_delay_alu instid0(VALU_DEP_1) | instskip(SKIP_2) | instid1(SALU_CYCLE_1)
	v_cmp_ne_u32_e32 vcc_lo, 0, v1
	v_and_b32_e32 v1, 16, v48
	s_and_b32 s18, vcc_lo, s16
	s_and_saveexec_b32 s16, s18
	s_cbranch_execz .LBB8_287
; %bb.286:                              ;   in Loop: Header=BB8_107 Depth=1
	v_mov_b32_e32 v1, 1
	s_waitcnt lgkmcnt(0)
	s_waitcnt_vscnt null, 0x0
	buffer_gl1_inv
	buffer_gl0_inv
.LBB8_287:                              ;   in Loop: Header=BB8_107 Depth=1
	s_or_b32 exec_lo, exec_lo, s16
.LBB8_288:                              ;   in Loop: Header=BB8_107 Depth=1
	s_and_not1_saveexec_b32 s16, s17
	s_cbranch_execz .LBB8_310
; %bb.289:                              ;   in Loop: Header=BB8_107 Depth=1
	s_and_saveexec_b32 s17, s4
	s_delay_alu instid0(SALU_CYCLE_1)
	s_xor_b32 s17, exec_lo, s17
	s_cbranch_execz .LBB8_307
; %bb.290:                              ;   in Loop: Header=BB8_107 Depth=1
	s_and_saveexec_b32 s18, s5
	s_cbranch_execz .LBB8_306
; %bb.291:                              ;   in Loop: Header=BB8_107 Depth=1
	s_mov_b32 s30, exec_lo
	s_mov_b32 s19, exec_lo
	v_mbcnt_lo_u32_b32 v1, s30, 0
	;;#ASMSTART
	s_waitcnt lgkmcnt(0) vmcnt(0)
	;;#ASMEND
	s_delay_alu instid0(VALU_DEP_1)
	v_cmpx_eq_u32_e32 0, v1
	s_cbranch_execz .LBB8_293
; %bb.292:                              ;   in Loop: Header=BB8_107 Depth=1
	s_bcnt1_i32_b32 vcc_lo, s30
	s_delay_alu instid0(SALU_CYCLE_1)
	v_mov_b32_e32 v1, vcc_lo
	ds_add_u64 v0, v[1:2]
	s_cbranch_execnz .LBB8_1457
.LBB8_293:                              ;   in Loop: Header=BB8_107 Depth=1
	s_or_b32 exec_lo, exec_lo, s19
	s_cbranch_execnz .LBB8_1404
; %bb.294:                              ;   in Loop: Header=BB8_107 Depth=1
	ds_load_b64 v[10:11], v0
	v_add_co_u32 v24, vcc_lo, v24, v54
	v_add_co_ci_u32_e32 v25, vcc_lo, 0, v25, vcc_lo
	s_mov_b32 s19, exec_lo
	s_waitcnt lgkmcnt(0)
	s_delay_alu instid0(VALU_DEP_1)
	v_cmpx_lt_u64_e64 v[10:11], v[24:25]
	s_cbranch_execz .LBB8_305
; %bb.295:                              ;   in Loop: Header=BB8_107 Depth=1
	s_mov_b32 s30, 0
	s_mov_b32 s35, 0
                                        ; implicit-def: $sgpr31
                                        ; implicit-def: $sgpr34
	s_branch .LBB8_297
.LBB8_296:                              ;   in Loop: Header=BB8_297 Depth=2
	s_or_b32 exec_lo, exec_lo, s37
	s_delay_alu instid0(SALU_CYCLE_1) | instskip(NEXT) | instid1(SALU_CYCLE_1)
	s_and_b32 vcc_lo, exec_lo, vcc_lo
	s_or_b32 s30, vcc_lo, s30
	s_and_not1_b32 vcc_lo, s31, exec_lo
	s_and_b32 s31, s34, exec_lo
	s_delay_alu instid0(SALU_CYCLE_1)
	s_or_b32 s31, vcc_lo, s31
	s_and_not1_b32 exec_lo, exec_lo, s30
	s_cbranch_execz .LBB8_303
.LBB8_297:                              ;   Parent Loop BB8_107 Depth=1
                                        ; =>  This Inner Loop Header: Depth=2
	s_add_i32 s35, s35, 1
                                        ; implicit-def: $sgpr37
	s_delay_alu instid0(SALU_CYCLE_1) | instskip(SKIP_1) | instid1(SALU_CYCLE_1)
	s_cmpk_lg_i32 s35, 0x2710
	s_cselect_b32 s36, -1, 0
	s_and_b32 vcc_lo, exec_lo, s36
	s_cbranch_vccz .LBB8_301
.LBB8_298:                              ;   in Loop: Header=BB8_297 Depth=2
	s_and_not1_b32 s34, s34, exec_lo
	s_and_b32 s37, s37, exec_lo
	s_mov_b32 vcc_lo, -1
	s_or_b32 s34, s34, s37
	s_and_saveexec_b32 s37, s36
	s_cbranch_execz .LBB8_296
; %bb.299:                              ;   in Loop: Header=BB8_297 Depth=2
	s_sleep 1
	s_cbranch_execnz .LBB8_1503
; %bb.300:                              ;   in Loop: Header=BB8_297 Depth=2
	ds_load_b64 v[10:11], v0
	s_and_not1_b32 s34, s34, exec_lo
	s_waitcnt lgkmcnt(0)
	v_cmp_ge_u64_e32 vcc_lo, v[10:11], v[24:25]
	s_or_not1_b32 vcc_lo, vcc_lo, exec_lo
	s_branch .LBB8_296
.LBB8_301:                              ;   in Loop: Header=BB8_297 Depth=2
	s_cbranch_execnz .LBB8_1521
; %bb.302:                              ;   in Loop: Header=BB8_297 Depth=2
	ds_load_b64 v[10:11], v0
	s_and_not1_b32 s36, s36, exec_lo
	s_mov_b32 s35, 0
	s_mov_b32 s37, -1
	s_waitcnt lgkmcnt(0)
	s_waitcnt_vscnt null, 0x0
	flat_load_b32 v1, v[10:11] glc
	s_waitcnt vmcnt(0) lgkmcnt(0)
	buffer_gl1_inv
	buffer_gl0_inv
	v_cmp_eq_u32_e32 vcc_lo, 0, v1
	s_and_b32 vcc_lo, vcc_lo, exec_lo
	s_delay_alu instid0(SALU_CYCLE_1)
	s_or_b32 s36, s36, vcc_lo
	s_branch .LBB8_298
.LBB8_303:                              ;   in Loop: Header=BB8_107 Depth=1
	s_or_b32 exec_lo, exec_lo, s30
	s_and_saveexec_b32 vcc_lo, s31
	s_delay_alu instid0(SALU_CYCLE_1)
	s_xor_b32 vcc_lo, exec_lo, vcc_lo
	s_cbranch_execz .LBB8_305
; %bb.304:                              ;   in Loop: Header=BB8_107 Depth=1
	ds_store_b32 v0, v97
	s_cbranch_execnz .LBB8_1583
.LBB8_305:                              ;   in Loop: Header=BB8_107 Depth=1
	s_or_b32 exec_lo, exec_lo, s19
	;;#ASMSTART
	s_wakeup
	;;#ASMEND
.LBB8_306:                              ;   in Loop: Header=BB8_107 Depth=1
	s_or_b32 exec_lo, exec_lo, s18
.LBB8_307:                              ;   in Loop: Header=BB8_107 Depth=1
	s_and_not1_saveexec_b32 s17, s17
	s_cbranch_execz .LBB8_309
; %bb.308:                              ;   in Loop: Header=BB8_107 Depth=1
	;;#ASMSTART
	s_waitcnt lgkmcnt(0) vmcnt(0)
	;;#ASMEND
	s_waitcnt lgkmcnt(0)
	s_waitcnt_vscnt null, 0x0
	s_barrier
.LBB8_309:                              ;   in Loop: Header=BB8_107 Depth=1
	s_or_b32 exec_lo, exec_lo, s17
	v_and_b32_e32 v1, 16, v48
.LBB8_310:                              ;   in Loop: Header=BB8_107 Depth=1
	s_or_b32 exec_lo, exec_lo, s16
	s_delay_alu instid0(VALU_DEP_1) | instskip(SKIP_1) | instid1(SALU_CYCLE_1)
	v_cmp_ne_u32_e32 vcc_lo, 0, v1
	s_xor_b32 s16, s12, -1
	s_and_b32 s17, vcc_lo, s16
	s_delay_alu instid0(SALU_CYCLE_1)
	s_and_saveexec_b32 s16, s17
	s_cbranch_execz .LBB8_312
; %bb.311:                              ;   in Loop: Header=BB8_107 Depth=1
	s_waitcnt lgkmcnt(0)
	s_waitcnt_vscnt null, 0x0
	flat_store_b32 v[26:27], v97
.LBB8_312:                              ;   in Loop: Header=BB8_107 Depth=1
	s_or_b32 exec_lo, exec_lo, s16
	v_and_b32_e32 v1, 48, v48
	s_mov_b32 s16, exec_lo
	s_delay_alu instid0(VALU_DEP_1)
	v_cmpx_ne_u32_e32 0, v1
	s_cbranch_execz .LBB8_314
; %bb.313:                              ;   in Loop: Header=BB8_107 Depth=1
	v_add_co_u32 v8, vcc_lo, v8, 1
	v_add_co_ci_u32_e32 v9, vcc_lo, 0, v9, vcc_lo
	s_waitcnt lgkmcnt(0)
	s_waitcnt_vscnt null, 0x0
	flat_store_b64 v[20:21], v[8:9]
.LBB8_314:                              ;   in Loop: Header=BB8_107 Depth=1
	s_or_b32 exec_lo, exec_lo, s16
	v_mov_b32_e32 v12, v36
.LBB8_315:                              ;   in Loop: Header=BB8_107 Depth=1
	s_or_b32 exec_lo, exec_lo, vcc_hi
	s_mov_b32 s16, 0
	s_and_saveexec_b32 s17, s14
	s_cbranch_execz .LBB8_397
; %bb.316:                              ;   in Loop: Header=BB8_107 Depth=1
	v_and_b32_e32 v1, 12, v48
	s_mov_b32 s18, -1
	s_mov_b32 s16, exec_lo
	s_delay_alu instid0(VALU_DEP_1)
	v_cmpx_ne_u32_e32 0, v1
	s_cbranch_execz .LBB8_330
; %bb.317:                              ;   in Loop: Header=BB8_107 Depth=1
	v_and_b32_e32 v1, 8, v48
	v_mov_b32_e32 v13, 1
	s_mov_b32 s18, exec_lo
	s_delay_alu instid0(VALU_DEP_2) | instskip(SKIP_3) | instid1(VALU_DEP_1)
	v_add_co_u32 v37, vcc_lo, v28, v1
	v_add_co_ci_u32_e32 v38, vcc_lo, 0, v29, vcc_lo
	v_add_co_u32 v10, vcc_lo, v8, 1
	v_add_co_ci_u32_e32 v11, vcc_lo, 0, v9, vcc_lo
	v_cmpx_lt_u64_e64 v[37:38], v[10:11]
	s_cbranch_execz .LBB8_329
; %bb.318:                              ;   in Loop: Header=BB8_107 Depth=1
	v_mov_b32_e32 v13, 0
	s_mov_b32 s19, 0
                                        ; implicit-def: $vcc_hi
	s_branch .LBB8_322
.LBB8_319:                              ;   in Loop: Header=BB8_322 Depth=2
	s_or_b32 exec_lo, exec_lo, s35
	v_mov_b32_e32 v37, 0
	s_or_not1_b32 s34, s34, exec_lo
.LBB8_320:                              ;   in Loop: Header=BB8_322 Depth=2
	s_or_b32 exec_lo, exec_lo, s31
	s_delay_alu instid0(VALU_DEP_1) | instskip(SKIP_2) | instid1(SALU_CYCLE_1)
	v_mov_b32_e32 v13, v37
	s_and_not1_b32 vcc_lo, vcc_hi, exec_lo
	s_and_b32 vcc_hi, s34, exec_lo
	s_or_b32 vcc_hi, vcc_lo, vcc_hi
.LBB8_321:                              ;   in Loop: Header=BB8_322 Depth=2
	s_or_b32 exec_lo, exec_lo, s30
	s_waitcnt vmcnt(0) lgkmcnt(0)
	v_add_co_u32 v37, vcc_lo, v28, v1
	v_add_co_ci_u32_e32 v38, vcc_lo, 0, v29, vcc_lo
	s_delay_alu instid0(VALU_DEP_1) | instskip(SKIP_1) | instid1(SALU_CYCLE_1)
	v_cmp_ge_u64_e32 vcc_lo, v[37:38], v[10:11]
	s_xor_b32 s30, vcc_hi, -1
	s_or_b32 vcc_lo, s30, vcc_lo
	s_delay_alu instid0(SALU_CYCLE_1) | instskip(NEXT) | instid1(SALU_CYCLE_1)
	s_and_b32 vcc_lo, exec_lo, vcc_lo
	s_or_b32 s19, vcc_lo, s19
	s_delay_alu instid0(SALU_CYCLE_1)
	s_and_not1_b32 exec_lo, exec_lo, s19
	s_cbranch_execz .LBB8_328
.LBB8_322:                              ;   Parent Loop BB8_107 Depth=1
                                        ; =>  This Inner Loop Header: Depth=2
	s_sleep 1
	flat_load_b64 v[28:29], v[20:21] glc
	v_and_b32_e32 v37, 64, v48
	s_and_not1_b32 vcc_hi, vcc_hi, exec_lo
	s_mov_b32 s30, exec_lo
	s_delay_alu instid0(VALU_DEP_1)
	v_cmpx_eq_u32_e32 0, v37
	s_cbranch_execz .LBB8_321
; %bb.323:                              ;   in Loop: Header=BB8_322 Depth=2
	v_add_nc_u32_e32 v37, 1, v13
	s_mov_b32 s34, -1
	s_mov_b32 s31, exec_lo
	v_cmpx_lt_i32_e32 0x270e, v13
	s_cbranch_execz .LBB8_320
; %bb.324:                              ;   in Loop: Header=BB8_322 Depth=2
	s_cbranch_execnz .LBB8_1227
; %bb.325:                              ;   in Loop: Header=BB8_322 Depth=2
	ds_load_b64 v[37:38], v0
	s_mov_b32 s35, exec_lo
	s_waitcnt vmcnt(0) lgkmcnt(0)
	s_waitcnt_vscnt null, 0x0
	flat_load_b32 v13, v[37:38] glc
	s_waitcnt vmcnt(0) lgkmcnt(0)
	buffer_gl1_inv
	buffer_gl0_inv
	v_cmpx_ne_u32_e32 0, v13
	s_cbranch_execz .LBB8_319
; %bb.326:                              ;   in Loop: Header=BB8_322 Depth=2
	ds_store_b32 v0, v13
	s_cbranch_execnz .LBB8_1272
; %bb.327:                              ;   in Loop: Header=BB8_322 Depth=2
	v_or_b32_e32 v48, 64, v48
	s_xor_b32 s34, exec_lo, -1
	s_branch .LBB8_319
.LBB8_328:                              ;   in Loop: Header=BB8_107 Depth=1
	s_or_b32 exec_lo, exec_lo, s19
	v_and_b32_e32 v13, 12, v48
.LBB8_329:                              ;   in Loop: Header=BB8_107 Depth=1
	s_or_b32 exec_lo, exec_lo, s18
	s_delay_alu instid0(VALU_DEP_1)
	v_cmp_eq_u32_e32 vcc_lo, 0, v13
	;;#ASMSTART
	s_wakeup
	;;#ASMEND
	s_or_not1_b32 s18, vcc_lo, exec_lo
.LBB8_330:                              ;   in Loop: Header=BB8_107 Depth=1
	s_or_b32 exec_lo, exec_lo, s16
	v_sub_nc_u32_e32 v1, v39, v12
	s_xor_b32 s16, s18, -1
	s_delay_alu instid0(VALU_DEP_1)
	v_min_i32_e32 v10, v36, v1
	s_and_saveexec_b32 s18, s16
	s_cbranch_execz .LBB8_345
; %bb.331:                              ;   in Loop: Header=BB8_107 Depth=1
	v_and_b32_e32 v1, 0x108, v48
	s_mov_b32 s16, exec_lo
	s_delay_alu instid0(VALU_DEP_1)
	v_cmpx_ne_u32_e32 0x108, v1
	s_xor_b32 s16, exec_lo, s16
                                        ; implicit-def: $vgpr12_vgpr13
; %bb.332:                              ;   in Loop: Header=BB8_107 Depth=1
	v_and_b32_e32 v12, 7, v8
; %bb.333:                              ;   in Loop: Header=BB8_107 Depth=1
	s_and_not1_saveexec_b32 s16, s16
	s_cbranch_execz .LBB8_335
; %bb.334:                              ;   in Loop: Header=BB8_107 Depth=1
	v_and_b32_e32 v12, 7, v8
	v_ashrrev_i32_e32 v11, 31, v10
	s_delay_alu instid0(VALU_DEP_2)
	v_mad_u64_u32 v[36:37], null, v12, 24, v[6:7]
	flat_store_b64 v[36:37], v[10:11] offset:8
.LBB8_335:                              ;   in Loop: Header=BB8_107 Depth=1
	s_or_b32 exec_lo, exec_lo, s16
	v_and_b32_e32 v1, 0x100, v48
	s_mov_b32 s16, -1
	s_mov_b32 s19, exec_lo
                                        ; implicit-def: $vgpr36_vgpr37
	s_delay_alu instid0(VALU_DEP_1)
	v_cmpx_ne_u32_e32 0, v1
	s_cbranch_execnz .LBB8_338
; %bb.336:                              ;   in Loop: Header=BB8_107 Depth=1
	s_or_b32 exec_lo, exec_lo, s19
	s_and_saveexec_b32 s19, s16
	s_cbranch_execnz .LBB8_341
.LBB8_337:                              ;   in Loop: Header=BB8_107 Depth=1
	s_or_b32 exec_lo, exec_lo, s19
	s_cbranch_execnz .LBB8_1223
	s_branch .LBB8_342
.LBB8_338:                              ;   in Loop: Header=BB8_107 Depth=1
	v_mad_u64_u32 v[38:39], null, v12, 24, v[6:7]
	s_delay_alu instid0(VALU_DEP_1) | instskip(NEXT) | instid1(VALU_DEP_1)
	v_mov_b32_e32 v1, v39
	v_mad_u64_u32 v[36:37], null, v2, 24, v[1:2]
	s_delay_alu instid0(VALU_DEP_1)
	v_mov_b32_e32 v39, v36
                                        ; implicit-def: $vgpr36_vgpr37
	flat_load_b32 v1, v[38:39]
	s_waitcnt vmcnt(0) lgkmcnt(0)
	v_cmp_ne_u32_e32 vcc_lo, 1, v1
	s_mov_b32 vcc_hi, exec_lo
	v_cmpx_eq_u32_e32 1, v1
	s_cbranch_execz .LBB8_340
; %bb.339:                              ;   in Loop: Header=BB8_107 Depth=1
	flat_load_b32 v36, v[38:39] offset:4 glc
	s_waitcnt vmcnt(0) lgkmcnt(0)
	v_ashrrev_i32_e32 v37, 31, v36
.LBB8_340:                              ;   in Loop: Header=BB8_107 Depth=1
	s_or_b32 exec_lo, exec_lo, vcc_hi
	s_delay_alu instid0(SALU_CYCLE_1)
	s_or_not1_b32 s16, vcc_lo, exec_lo
	s_or_b32 exec_lo, exec_lo, s19
	s_and_saveexec_b32 s19, s16
	s_cbranch_execz .LBB8_337
.LBB8_341:                              ;   in Loop: Header=BB8_107 Depth=1
	v_mul_lo_u32 v1, v2, v49
	v_mul_lo_u32 v11, v12, v52
	v_mad_u64_u32 v[36:37], null, v12, v49, 0
	s_delay_alu instid0(VALU_DEP_1)
	v_add3_u32 v37, v37, v11, v1
	s_or_b32 exec_lo, exec_lo, s19
	s_cbranch_execnz .LBB8_1223
.LBB8_342:                              ;   in Loop: Header=BB8_107 Depth=1
	s_delay_alu instid0(VALU_DEP_2)
	v_add_co_u32 v11, vcc_lo, v22, v36
	v_and_b32_e32 v1, 0x2000, v48
	v_add_co_ci_u32_e32 v12, vcc_lo, v23, v37, vcc_lo
	s_mov_b32 s16, exec_lo
	ds_store_b64 v0, v[11:12]
	v_cmpx_ne_u32_e32 0, v1
	s_cbranch_execz .LBB8_344
; %bb.343:                              ;   in Loop: Header=BB8_107 Depth=1
	ds_load_b64 v[11:12], v0 offset:584
	s_waitcnt lgkmcnt(0)
	v_add_co_u32 v11, vcc_lo, v11, 1
	v_add_co_ci_u32_e32 v12, vcc_lo, 0, v12, vcc_lo
	ds_store_b64 v0, v[11:12] offset:584
.LBB8_344:                              ;   in Loop: Header=BB8_107 Depth=1
	s_or_b32 exec_lo, exec_lo, s16
	v_add_co_u32 v8, vcc_lo, v8, 1
	v_add_co_ci_u32_e32 v9, vcc_lo, 0, v9, vcc_lo
.LBB8_345:                              ;   in Loop: Header=BB8_107 Depth=1
	s_or_b32 exec_lo, exec_lo, s18
	s_and_saveexec_b32 s16, s3
	s_cbranch_execz .LBB8_367
; %bb.346:                              ;   in Loop: Header=BB8_107 Depth=1
	s_and_saveexec_b32 s18, s4
	s_delay_alu instid0(SALU_CYCLE_1)
	s_xor_b32 s18, exec_lo, s18
	s_cbranch_execz .LBB8_364
; %bb.347:                              ;   in Loop: Header=BB8_107 Depth=1
	s_and_saveexec_b32 s19, s5
	s_cbranch_execz .LBB8_363
; %bb.348:                              ;   in Loop: Header=BB8_107 Depth=1
	s_mov_b32 s30, exec_lo
	s_mov_b32 vcc_hi, exec_lo
	v_mbcnt_lo_u32_b32 v1, s30, 0
	s_waitcnt lgkmcnt(0)
	s_waitcnt_vscnt null, 0x0
	buffer_gl1_inv
	buffer_gl0_inv
	v_cmpx_eq_u32_e32 0, v1
	s_cbranch_execz .LBB8_350
; %bb.349:                              ;   in Loop: Header=BB8_107 Depth=1
	s_bcnt1_i32_b32 vcc_lo, s30
	s_delay_alu instid0(SALU_CYCLE_1)
	v_mov_b32_e32 v1, vcc_lo
	ds_add_u64 v0, v[1:2]
	s_cbranch_execnz .LBB8_1316
.LBB8_350:                              ;   in Loop: Header=BB8_107 Depth=1
	s_or_b32 exec_lo, exec_lo, vcc_hi
	s_cbranch_execnz .LBB8_1294
; %bb.351:                              ;   in Loop: Header=BB8_107 Depth=1
	ds_load_b64 v[11:12], v0
	v_add_co_u32 v24, vcc_lo, v24, v54
	v_add_co_ci_u32_e32 v25, vcc_lo, 0, v25, vcc_lo
	s_mov_b32 vcc_hi, exec_lo
	s_waitcnt lgkmcnt(0)
	s_delay_alu instid0(VALU_DEP_1)
	v_cmpx_lt_u64_e64 v[11:12], v[24:25]
	s_cbranch_execz .LBB8_362
; %bb.352:                              ;   in Loop: Header=BB8_107 Depth=1
	s_mov_b32 s30, 0
	s_mov_b32 s35, 0
                                        ; implicit-def: $sgpr31
                                        ; implicit-def: $sgpr34
	s_branch .LBB8_354
.LBB8_353:                              ;   in Loop: Header=BB8_354 Depth=2
	s_or_b32 exec_lo, exec_lo, s37
	s_delay_alu instid0(SALU_CYCLE_1) | instskip(NEXT) | instid1(SALU_CYCLE_1)
	s_and_b32 vcc_lo, exec_lo, vcc_lo
	s_or_b32 s30, vcc_lo, s30
	s_and_not1_b32 vcc_lo, s31, exec_lo
	s_and_b32 s31, s34, exec_lo
	s_delay_alu instid0(SALU_CYCLE_1)
	s_or_b32 s31, vcc_lo, s31
	s_and_not1_b32 exec_lo, exec_lo, s30
	s_cbranch_execz .LBB8_360
.LBB8_354:                              ;   Parent Loop BB8_107 Depth=1
                                        ; =>  This Inner Loop Header: Depth=2
	s_add_i32 s35, s35, 1
                                        ; implicit-def: $sgpr37
	s_delay_alu instid0(SALU_CYCLE_1) | instskip(SKIP_1) | instid1(SALU_CYCLE_1)
	s_cmpk_lg_i32 s35, 0x2710
	s_cselect_b32 s36, -1, 0
	s_and_b32 vcc_lo, exec_lo, s36
	s_cbranch_vccz .LBB8_358
.LBB8_355:                              ;   in Loop: Header=BB8_354 Depth=2
	s_and_not1_b32 s34, s34, exec_lo
	s_and_b32 s37, s37, exec_lo
	s_mov_b32 vcc_lo, -1
	s_or_b32 s34, s34, s37
	s_and_saveexec_b32 s37, s36
	s_cbranch_execz .LBB8_353
; %bb.356:                              ;   in Loop: Header=BB8_354 Depth=2
	s_sleep 1
	s_cbranch_execnz .LBB8_1368
; %bb.357:                              ;   in Loop: Header=BB8_354 Depth=2
	ds_load_b64 v[11:12], v0
	s_and_not1_b32 s34, s34, exec_lo
	s_waitcnt lgkmcnt(0)
	v_cmp_ge_u64_e32 vcc_lo, v[11:12], v[24:25]
	s_or_not1_b32 vcc_lo, vcc_lo, exec_lo
	s_branch .LBB8_353
.LBB8_358:                              ;   in Loop: Header=BB8_354 Depth=2
	s_cbranch_execnz .LBB8_1382
; %bb.359:                              ;   in Loop: Header=BB8_354 Depth=2
	ds_load_b64 v[11:12], v0
	s_and_not1_b32 s36, s36, exec_lo
	s_mov_b32 s35, 0
	s_mov_b32 s37, -1
	s_waitcnt lgkmcnt(0)
	flat_load_b32 v1, v[11:12] glc
	s_waitcnt vmcnt(0) lgkmcnt(0)
	buffer_gl1_inv
	buffer_gl0_inv
	v_cmp_eq_u32_e32 vcc_lo, 0, v1
	s_and_b32 vcc_lo, vcc_lo, exec_lo
	s_delay_alu instid0(SALU_CYCLE_1)
	s_or_b32 s36, s36, vcc_lo
	s_branch .LBB8_355
.LBB8_360:                              ;   in Loop: Header=BB8_107 Depth=1
	s_or_b32 exec_lo, exec_lo, s30
	s_and_saveexec_b32 vcc_lo, s31
	s_delay_alu instid0(SALU_CYCLE_1)
	s_xor_b32 vcc_lo, exec_lo, vcc_lo
	s_cbranch_execz .LBB8_362
; %bb.361:                              ;   in Loop: Header=BB8_107 Depth=1
	ds_store_b32 v0, v97
	s_cbranch_execnz .LBB8_1549
.LBB8_362:                              ;   in Loop: Header=BB8_107 Depth=1
	s_or_b32 exec_lo, exec_lo, vcc_hi
	;;#ASMSTART
	s_wakeup
	;;#ASMEND
.LBB8_363:                              ;   in Loop: Header=BB8_107 Depth=1
	s_or_b32 exec_lo, exec_lo, s19
.LBB8_364:                              ;   in Loop: Header=BB8_107 Depth=1
	s_and_not1_saveexec_b32 s18, s18
	s_cbranch_execz .LBB8_366
; %bb.365:                              ;   in Loop: Header=BB8_107 Depth=1
	s_waitcnt lgkmcnt(0)
	s_waitcnt_vscnt null, 0x0
	buffer_gl1_inv
	buffer_gl0_inv
	s_barrier
.LBB8_366:                              ;   in Loop: Header=BB8_107 Depth=1
	s_or_b32 exec_lo, exec_lo, s18
.LBB8_367:                              ;   in Loop: Header=BB8_107 Depth=1
	s_delay_alu instid0(SALU_CYCLE_1) | instskip(SKIP_1) | instid1(SALU_CYCLE_1)
	s_or_b32 exec_lo, exec_lo, s16
                                        ; implicit-def: $vgpr1
	s_and_saveexec_b32 s16, s11
	s_xor_b32 s18, exec_lo, s16
	s_cbranch_execz .LBB8_372
; %bb.368:                              ;   in Loop: Header=BB8_107 Depth=1
	s_cbranch_execnz .LBB8_1239
; %bb.369:                              ;   in Loop: Header=BB8_107 Depth=1
	ds_load_b32 v1, v0
	v_cmp_lt_i32_e32 vcc_lo, 0, v10
	s_waitcnt lgkmcnt(0)
	v_readfirstlane_b32 s16, v1
	v_and_b32_e32 v1, 16, v48
	s_delay_alu instid0(VALU_DEP_2) | instskip(NEXT) | instid1(VALU_DEP_1)
	s_cmp_eq_u32 s16, 0
	v_cmp_ne_u32_e64 s16, 0, v1
	s_cselect_b32 s19, -1, 0
	v_and_b32_e32 v1, 16, v48
	s_and_b32 s19, vcc_lo, s19
	s_delay_alu instid0(VALU_DEP_2) | instid1(SALU_CYCLE_1)
	s_and_b32 s19, s16, s19
	s_delay_alu instid0(SALU_CYCLE_1)
	s_and_saveexec_b32 s16, s19
	s_cbranch_execz .LBB8_371
; %bb.370:                              ;   in Loop: Header=BB8_107 Depth=1
	v_mov_b32_e32 v1, 1
	s_waitcnt_vscnt null, 0x0
	buffer_gl1_inv
	buffer_gl0_inv
.LBB8_371:                              ;   in Loop: Header=BB8_107 Depth=1
	s_or_b32 exec_lo, exec_lo, s16
.LBB8_372:                              ;   in Loop: Header=BB8_107 Depth=1
	s_and_not1_saveexec_b32 s16, s18
	s_cbranch_execz .LBB8_394
; %bb.373:                              ;   in Loop: Header=BB8_107 Depth=1
	s_and_saveexec_b32 s18, s4
	s_delay_alu instid0(SALU_CYCLE_1)
	s_xor_b32 s18, exec_lo, s18
	s_cbranch_execz .LBB8_391
; %bb.374:                              ;   in Loop: Header=BB8_107 Depth=1
	s_and_saveexec_b32 s19, s5
	s_cbranch_execz .LBB8_390
; %bb.375:                              ;   in Loop: Header=BB8_107 Depth=1
	s_mov_b32 s30, exec_lo
	s_mov_b32 vcc_hi, exec_lo
	v_mbcnt_lo_u32_b32 v1, s30, 0
	;;#ASMSTART
	s_waitcnt lgkmcnt(0) vmcnt(0)
	;;#ASMEND
	s_delay_alu instid0(VALU_DEP_1)
	v_cmpx_eq_u32_e32 0, v1
	s_cbranch_execz .LBB8_377
; %bb.376:                              ;   in Loop: Header=BB8_107 Depth=1
	s_bcnt1_i32_b32 vcc_lo, s30
	s_delay_alu instid0(SALU_CYCLE_1)
	v_mov_b32_e32 v1, vcc_lo
	ds_add_u64 v0, v[1:2]
	s_cbranch_execnz .LBB8_1336
.LBB8_377:                              ;   in Loop: Header=BB8_107 Depth=1
	s_or_b32 exec_lo, exec_lo, vcc_hi
	s_cbranch_execnz .LBB8_1312
; %bb.378:                              ;   in Loop: Header=BB8_107 Depth=1
	ds_load_b64 v[10:11], v0
	v_add_co_u32 v24, vcc_lo, v24, v54
	v_add_co_ci_u32_e32 v25, vcc_lo, 0, v25, vcc_lo
	s_mov_b32 vcc_hi, exec_lo
	s_waitcnt lgkmcnt(0)
	s_delay_alu instid0(VALU_DEP_1)
	v_cmpx_lt_u64_e64 v[10:11], v[24:25]
	s_cbranch_execz .LBB8_389
; %bb.379:                              ;   in Loop: Header=BB8_107 Depth=1
	s_mov_b32 s30, 0
	s_mov_b32 s35, 0
                                        ; implicit-def: $sgpr31
                                        ; implicit-def: $sgpr34
	s_branch .LBB8_381
.LBB8_380:                              ;   in Loop: Header=BB8_381 Depth=2
	s_or_b32 exec_lo, exec_lo, s37
	s_delay_alu instid0(SALU_CYCLE_1) | instskip(NEXT) | instid1(SALU_CYCLE_1)
	s_and_b32 vcc_lo, exec_lo, vcc_lo
	s_or_b32 s30, vcc_lo, s30
	s_and_not1_b32 vcc_lo, s31, exec_lo
	s_and_b32 s31, s34, exec_lo
	s_delay_alu instid0(SALU_CYCLE_1)
	s_or_b32 s31, vcc_lo, s31
	s_and_not1_b32 exec_lo, exec_lo, s30
	s_cbranch_execz .LBB8_387
.LBB8_381:                              ;   Parent Loop BB8_107 Depth=1
                                        ; =>  This Inner Loop Header: Depth=2
	s_add_i32 s35, s35, 1
                                        ; implicit-def: $sgpr37
	s_delay_alu instid0(SALU_CYCLE_1) | instskip(SKIP_1) | instid1(SALU_CYCLE_1)
	s_cmpk_lg_i32 s35, 0x2710
	s_cselect_b32 s36, -1, 0
	s_and_b32 vcc_lo, exec_lo, s36
	s_cbranch_vccz .LBB8_385
.LBB8_382:                              ;   in Loop: Header=BB8_381 Depth=2
	s_and_not1_b32 s34, s34, exec_lo
	s_and_b32 s37, s37, exec_lo
	s_mov_b32 vcc_lo, -1
	s_or_b32 s34, s34, s37
	s_and_saveexec_b32 s37, s36
	s_cbranch_execz .LBB8_380
; %bb.383:                              ;   in Loop: Header=BB8_381 Depth=2
	s_sleep 1
	s_cbranch_execnz .LBB8_1400
; %bb.384:                              ;   in Loop: Header=BB8_381 Depth=2
	ds_load_b64 v[10:11], v0
	s_and_not1_b32 s34, s34, exec_lo
	s_waitcnt lgkmcnt(0)
	v_cmp_ge_u64_e32 vcc_lo, v[10:11], v[24:25]
	s_or_not1_b32 vcc_lo, vcc_lo, exec_lo
	s_branch .LBB8_380
.LBB8_385:                              ;   in Loop: Header=BB8_381 Depth=2
	s_cbranch_execnz .LBB8_1437
; %bb.386:                              ;   in Loop: Header=BB8_381 Depth=2
	ds_load_b64 v[10:11], v0
	s_and_not1_b32 s36, s36, exec_lo
	s_mov_b32 s35, 0
	s_mov_b32 s37, -1
	s_waitcnt lgkmcnt(0)
	s_waitcnt_vscnt null, 0x0
	flat_load_b32 v1, v[10:11] glc
	s_waitcnt vmcnt(0) lgkmcnt(0)
	buffer_gl1_inv
	buffer_gl0_inv
	v_cmp_eq_u32_e32 vcc_lo, 0, v1
	s_and_b32 vcc_lo, vcc_lo, exec_lo
	s_delay_alu instid0(SALU_CYCLE_1)
	s_or_b32 s36, s36, vcc_lo
	s_branch .LBB8_382
.LBB8_387:                              ;   in Loop: Header=BB8_107 Depth=1
	s_or_b32 exec_lo, exec_lo, s30
	s_and_saveexec_b32 vcc_lo, s31
	s_delay_alu instid0(SALU_CYCLE_1)
	s_xor_b32 vcc_lo, exec_lo, vcc_lo
	s_cbranch_execz .LBB8_389
; %bb.388:                              ;   in Loop: Header=BB8_107 Depth=1
	ds_store_b32 v0, v97
	s_cbranch_execnz .LBB8_1559
.LBB8_389:                              ;   in Loop: Header=BB8_107 Depth=1
	s_or_b32 exec_lo, exec_lo, vcc_hi
	;;#ASMSTART
	s_wakeup
	;;#ASMEND
.LBB8_390:                              ;   in Loop: Header=BB8_107 Depth=1
	s_or_b32 exec_lo, exec_lo, s19
.LBB8_391:                              ;   in Loop: Header=BB8_107 Depth=1
	s_and_not1_saveexec_b32 s18, s18
	s_cbranch_execz .LBB8_393
; %bb.392:                              ;   in Loop: Header=BB8_107 Depth=1
	;;#ASMSTART
	s_waitcnt lgkmcnt(0) vmcnt(0)
	;;#ASMEND
	s_waitcnt lgkmcnt(0)
	s_waitcnt_vscnt null, 0x0
	s_barrier
.LBB8_393:                              ;   in Loop: Header=BB8_107 Depth=1
	s_or_b32 exec_lo, exec_lo, s18
	v_and_b32_e32 v1, 16, v48
.LBB8_394:                              ;   in Loop: Header=BB8_107 Depth=1
	s_or_b32 exec_lo, exec_lo, s16
	s_delay_alu instid0(VALU_DEP_1) | instskip(SKIP_1) | instid1(SALU_CYCLE_1)
	v_cmp_ne_u32_e32 vcc_lo, 0, v1
	s_xor_b32 s16, s12, -1
	s_and_b32 s18, vcc_lo, s16
	s_delay_alu instid0(SALU_CYCLE_1)
	s_and_saveexec_b32 s16, s18
	s_cbranch_execz .LBB8_396
; %bb.395:                              ;   in Loop: Header=BB8_107 Depth=1
	s_waitcnt lgkmcnt(0)
	s_waitcnt_vscnt null, 0x0
	flat_store_b32 v[26:27], v97
.LBB8_396:                              ;   in Loop: Header=BB8_107 Depth=1
	s_or_b32 exec_lo, exec_lo, s16
	v_and_b32_e32 v1, 48, v48
	s_delay_alu instid0(VALU_DEP_1)
	v_cmp_ne_u32_e32 vcc_lo, 0, v1
	s_and_b32 s16, vcc_lo, exec_lo
.LBB8_397:                              ;   in Loop: Header=BB8_107 Depth=1
	s_or_b32 exec_lo, exec_lo, s17
	s_delay_alu instid0(SALU_CYCLE_1)
	s_and_b32 s18, s16, exec_lo
                                        ; implicit-def: $vgpr36
                                        ; implicit-def: $vgpr39
                                        ; implicit-def: $vgpr1
                                        ; implicit-def: $vgpr10
.LBB8_398:                              ;   in Loop: Header=BB8_107 Depth=1
	s_and_not1_saveexec_b32 s19, s28
	s_cbranch_execz .LBB8_633
; %bb.399:                              ;   in Loop: Header=BB8_107 Depth=1
	v_mov_b32_e32 v37, 0
	s_and_saveexec_b32 s28, s15
	s_cbranch_execz .LBB8_557
; %bb.400:                              ;   in Loop: Header=BB8_107 Depth=1
	s_and_saveexec_b32 s17, s0
	s_cbranch_execz .LBB8_403
; %bb.401:                              ;   in Loop: Header=BB8_107 Depth=1
	s_cbranch_execnz .LBB8_1177
; %bb.402:                              ;   in Loop: Header=BB8_107 Depth=1
	ds_load_b128 v[98:101], v0
	s_waitcnt lgkmcnt(0)
	v_add_co_u32 v13, vcc_lo, v100, v1
	v_add_co_ci_u32_e32 v37, vcc_lo, v101, v10, vcc_lo
	v_cmp_ne_u64_e32 vcc_lo, 0, v[100:101]
	v_add_co_u32 v11, s16, v98, v1
	s_delay_alu instid0(VALU_DEP_1) | instskip(NEXT) | instid1(VALU_DEP_4)
	v_add_co_ci_u32_e64 v12, s16, v99, v10, s16
	v_cndmask_b32_e32 v38, 0, v37, vcc_lo
	v_cndmask_b32_e32 v37, 0, v13, vcc_lo
	ds_store_b64 v0, v[11:12]
	ds_store_b64 v0, v[37:38]
.LBB8_403:                              ;   in Loop: Header=BB8_107 Depth=1
	s_or_b32 exec_lo, exec_lo, s17
	v_and_b32_e32 v1, 4, v48
	s_mov_b32 s17, -1
	s_mov_b32 s16, exec_lo
	s_delay_alu instid0(VALU_DEP_1)
	v_cmpx_ne_u32_e32 0, v1
	s_cbranch_execz .LBB8_417
; %bb.404:                              ;   in Loop: Header=BB8_107 Depth=1
	v_add_co_u32 v10, vcc_lo, v8, 1
	v_add_co_ci_u32_e32 v11, vcc_lo, 0, v9, vcc_lo
	v_mov_b32_e32 v1, 1
	s_mov_b32 s17, exec_lo
	s_delay_alu instid0(VALU_DEP_2)
	v_cmpx_lt_u64_e64 v[28:29], v[10:11]
	s_cbranch_execz .LBB8_416
; %bb.405:                              ;   in Loop: Header=BB8_107 Depth=1
	v_mov_b32_e32 v1, 0
	s_mov_b32 vcc_hi, 0
                                        ; implicit-def: $sgpr30
	s_branch .LBB8_409
.LBB8_406:                              ;   in Loop: Header=BB8_409 Depth=2
	s_or_b32 exec_lo, exec_lo, s36
	v_mov_b32_e32 v12, 0
	s_or_not1_b32 s35, s35, exec_lo
.LBB8_407:                              ;   in Loop: Header=BB8_409 Depth=2
	s_or_b32 exec_lo, exec_lo, s34
	s_delay_alu instid0(VALU_DEP_1) | instskip(SKIP_2) | instid1(SALU_CYCLE_1)
	v_mov_b32_e32 v1, v12
	s_and_not1_b32 vcc_lo, s30, exec_lo
	s_and_b32 s30, s35, exec_lo
	s_or_b32 s30, vcc_lo, s30
.LBB8_408:                              ;   in Loop: Header=BB8_409 Depth=2
	s_or_b32 exec_lo, exec_lo, s31
	s_waitcnt vmcnt(0) lgkmcnt(0)
	v_cmp_ge_u64_e32 vcc_lo, v[28:29], v[10:11]
	s_xor_b32 s31, s30, -1
	s_delay_alu instid0(SALU_CYCLE_1) | instskip(NEXT) | instid1(SALU_CYCLE_1)
	s_or_b32 vcc_lo, s31, vcc_lo
	s_and_b32 vcc_lo, exec_lo, vcc_lo
	s_delay_alu instid0(SALU_CYCLE_1) | instskip(NEXT) | instid1(SALU_CYCLE_1)
	s_or_b32 vcc_hi, vcc_lo, vcc_hi
	s_and_not1_b32 exec_lo, exec_lo, vcc_hi
	s_cbranch_execz .LBB8_415
.LBB8_409:                              ;   Parent Loop BB8_107 Depth=1
                                        ; =>  This Inner Loop Header: Depth=2
	s_sleep 1
	flat_load_b64 v[28:29], v[20:21] glc
	v_and_b32_e32 v12, 64, v48
	s_and_not1_b32 s30, s30, exec_lo
	s_mov_b32 s31, exec_lo
	s_delay_alu instid0(VALU_DEP_1)
	v_cmpx_eq_u32_e32 0, v12
	s_cbranch_execz .LBB8_408
; %bb.410:                              ;   in Loop: Header=BB8_409 Depth=2
	v_add_nc_u32_e32 v12, 1, v1
	s_mov_b32 s35, -1
	s_mov_b32 s34, exec_lo
	v_cmpx_lt_i32_e32 0x270e, v1
	s_cbranch_execz .LBB8_407
; %bb.411:                              ;   in Loop: Header=BB8_409 Depth=2
	s_cbranch_execnz .LBB8_1233
; %bb.412:                              ;   in Loop: Header=BB8_409 Depth=2
	ds_load_b64 v[12:13], v0
	s_mov_b32 s36, exec_lo
	s_waitcnt vmcnt(0) lgkmcnt(0)
	s_waitcnt_vscnt null, 0x0
	flat_load_b32 v1, v[12:13] glc
	s_waitcnt vmcnt(0) lgkmcnt(0)
	buffer_gl1_inv
	buffer_gl0_inv
	v_cmpx_ne_u32_e32 0, v1
	s_cbranch_execz .LBB8_406
; %bb.413:                              ;   in Loop: Header=BB8_409 Depth=2
	ds_store_b32 v0, v1
	s_cbranch_execnz .LBB8_1278
; %bb.414:                              ;   in Loop: Header=BB8_409 Depth=2
	v_or_b32_e32 v48, 64, v48
	s_xor_b32 s35, exec_lo, -1
	s_branch .LBB8_406
.LBB8_415:                              ;   in Loop: Header=BB8_107 Depth=1
	s_or_b32 exec_lo, exec_lo, vcc_hi
	v_and_b32_e32 v1, 4, v48
.LBB8_416:                              ;   in Loop: Header=BB8_107 Depth=1
	s_or_b32 exec_lo, exec_lo, s17
	s_delay_alu instid0(VALU_DEP_1)
	v_cmp_eq_u32_e32 vcc_lo, 0, v1
	;;#ASMSTART
	s_wakeup
	;;#ASMEND
	s_or_not1_b32 s17, vcc_lo, exec_lo
.LBB8_417:                              ;   in Loop: Header=BB8_107 Depth=1
	s_or_b32 exec_lo, exec_lo, s16
	s_xor_b32 s16, s17, -1
	s_delay_alu instid0(SALU_CYCLE_1)
	s_and_saveexec_b32 s17, s16
	s_cbranch_execz .LBB8_427
; %bb.418:                              ;   in Loop: Header=BB8_107 Depth=1
	v_and_b32_e32 v1, 0x100, v48
	s_mov_b32 s16, -1
                                        ; implicit-def: $vgpr10_vgpr11
	s_delay_alu instid0(VALU_DEP_1)
	v_cmp_ne_u32_e32 vcc_lo, 0, v1
	v_and_b32_e32 v1, 7, v8
	s_and_saveexec_b32 vcc_hi, vcc_lo
	s_cbranch_execz .LBB8_422
; %bb.419:                              ;   in Loop: Header=BB8_107 Depth=1
	s_delay_alu instid0(VALU_DEP_1) | instskip(SKIP_4) | instid1(VALU_DEP_1)
	v_mad_u64_u32 v[12:13], null, v1, 24, v[6:7]
	flat_load_b32 v10, v[12:13]
	s_waitcnt vmcnt(0) lgkmcnt(0)
	v_cmp_ne_u32_e32 vcc_lo, 1, v10
	v_cmp_eq_u32_e64 s16, 1, v10
                                        ; implicit-def: $vgpr10_vgpr11
	s_and_saveexec_b32 s30, s16
	s_cbranch_execz .LBB8_421
; %bb.420:                              ;   in Loop: Header=BB8_107 Depth=1
	flat_load_b32 v10, v[12:13] offset:4 glc
	s_waitcnt vmcnt(0) lgkmcnt(0)
	v_ashrrev_i32_e32 v11, 31, v10
.LBB8_421:                              ;   in Loop: Header=BB8_107 Depth=1
	s_or_b32 exec_lo, exec_lo, s30
	s_delay_alu instid0(SALU_CYCLE_1)
	s_or_not1_b32 s16, vcc_lo, exec_lo
.LBB8_422:                              ;   in Loop: Header=BB8_107 Depth=1
	s_or_b32 exec_lo, exec_lo, vcc_hi
	s_and_saveexec_b32 vcc_lo, s16
; %bb.423:                              ;   in Loop: Header=BB8_107 Depth=1
	v_mad_i64_i32 v[10:11], null, v1, v49, 0
; %bb.424:                              ;   in Loop: Header=BB8_107 Depth=1
	s_or_b32 exec_lo, exec_lo, vcc_lo
	s_delay_alu instid0(VALU_DEP_1) | instskip(SKIP_1) | instid1(VALU_DEP_3)
	v_add_co_u32 v10, vcc_lo, v22, v10
	v_and_b32_e32 v1, 0x2000, v48
	v_add_co_ci_u32_e32 v11, vcc_lo, v23, v11, vcc_lo
	s_mov_b32 s16, exec_lo
	ds_store_b64 v0, v[10:11] offset:720
	v_cmpx_ne_u32_e32 0, v1
	s_cbranch_execz .LBB8_426
; %bb.425:                              ;   in Loop: Header=BB8_107 Depth=1
	ds_load_b64 v[10:11], v0 offset:584
	s_waitcnt lgkmcnt(0)
	v_add_co_u32 v10, vcc_lo, v10, 1
	v_add_co_ci_u32_e32 v11, vcc_lo, 0, v11, vcc_lo
	ds_store_b64 v0, v[10:11] offset:584
.LBB8_426:                              ;   in Loop: Header=BB8_107 Depth=1
	s_or_b32 exec_lo, exec_lo, s16
	v_add_co_u32 v8, vcc_lo, v8, 1
	v_add_co_ci_u32_e32 v9, vcc_lo, 0, v9, vcc_lo
.LBB8_427:                              ;   in Loop: Header=BB8_107 Depth=1
	s_or_b32 exec_lo, exec_lo, s17
	s_and_saveexec_b32 s16, s3
	s_cbranch_execz .LBB8_449
; %bb.428:                              ;   in Loop: Header=BB8_107 Depth=1
	s_and_saveexec_b32 s17, s4
	s_delay_alu instid0(SALU_CYCLE_1)
	s_xor_b32 s17, exec_lo, s17
	s_cbranch_execz .LBB8_446
; %bb.429:                              ;   in Loop: Header=BB8_107 Depth=1
	s_and_saveexec_b32 vcc_hi, s5
	s_cbranch_execz .LBB8_445
; %bb.430:                              ;   in Loop: Header=BB8_107 Depth=1
	s_mov_b32 s31, exec_lo
	s_mov_b32 s30, exec_lo
	v_mbcnt_lo_u32_b32 v1, s31, 0
	s_waitcnt lgkmcnt(0)
	s_waitcnt_vscnt null, 0x0
	buffer_gl1_inv
	buffer_gl0_inv
	v_cmpx_eq_u32_e32 0, v1
	s_cbranch_execz .LBB8_432
; %bb.431:                              ;   in Loop: Header=BB8_107 Depth=1
	s_bcnt1_i32_b32 vcc_lo, s31
	s_delay_alu instid0(SALU_CYCLE_1)
	v_mov_b32_e32 v1, vcc_lo
	ds_add_u64 v0, v[1:2]
	s_cbranch_execnz .LBB8_1306
.LBB8_432:                              ;   in Loop: Header=BB8_107 Depth=1
	s_or_b32 exec_lo, exec_lo, s30
	s_cbranch_execnz .LBB8_1284
; %bb.433:                              ;   in Loop: Header=BB8_107 Depth=1
	ds_load_b64 v[10:11], v0
	v_add_co_u32 v24, vcc_lo, v24, v54
	v_add_co_ci_u32_e32 v25, vcc_lo, 0, v25, vcc_lo
	s_mov_b32 s30, exec_lo
	s_waitcnt lgkmcnt(0)
	s_delay_alu instid0(VALU_DEP_1)
	v_cmpx_lt_u64_e64 v[10:11], v[24:25]
	s_cbranch_execz .LBB8_444
; %bb.434:                              ;   in Loop: Header=BB8_107 Depth=1
	s_mov_b32 s31, 0
	s_mov_b32 s36, 0
                                        ; implicit-def: $sgpr34
                                        ; implicit-def: $sgpr35
	s_branch .LBB8_436
.LBB8_435:                              ;   in Loop: Header=BB8_436 Depth=2
	s_or_b32 exec_lo, exec_lo, s38
	s_delay_alu instid0(SALU_CYCLE_1) | instskip(NEXT) | instid1(SALU_CYCLE_1)
	s_and_b32 vcc_lo, exec_lo, vcc_lo
	s_or_b32 s31, vcc_lo, s31
	s_and_not1_b32 vcc_lo, s34, exec_lo
	s_and_b32 s34, s35, exec_lo
	s_delay_alu instid0(SALU_CYCLE_1)
	s_or_b32 s34, vcc_lo, s34
	s_and_not1_b32 exec_lo, exec_lo, s31
	s_cbranch_execz .LBB8_442
.LBB8_436:                              ;   Parent Loop BB8_107 Depth=1
                                        ; =>  This Inner Loop Header: Depth=2
	s_add_i32 s36, s36, 1
                                        ; implicit-def: $sgpr38
	s_delay_alu instid0(SALU_CYCLE_1) | instskip(SKIP_1) | instid1(SALU_CYCLE_1)
	s_cmpk_lg_i32 s36, 0x2710
	s_cselect_b32 s37, -1, 0
	s_and_b32 vcc_lo, exec_lo, s37
	s_cbranch_vccz .LBB8_440
.LBB8_437:                              ;   in Loop: Header=BB8_436 Depth=2
	s_and_not1_b32 s35, s35, exec_lo
	s_and_b32 s38, s38, exec_lo
	s_mov_b32 vcc_lo, -1
	s_or_b32 s35, s35, s38
	s_and_saveexec_b32 s38, s37
	s_cbranch_execz .LBB8_435
; %bb.438:                              ;   in Loop: Header=BB8_436 Depth=2
	s_sleep 1
	s_cbranch_execnz .LBB8_1356
; %bb.439:                              ;   in Loop: Header=BB8_436 Depth=2
	ds_load_b64 v[10:11], v0
	s_and_not1_b32 s35, s35, exec_lo
	s_waitcnt lgkmcnt(0)
	v_cmp_ge_u64_e32 vcc_lo, v[10:11], v[24:25]
	s_or_not1_b32 vcc_lo, vcc_lo, exec_lo
	s_branch .LBB8_435
.LBB8_440:                              ;   in Loop: Header=BB8_436 Depth=2
	s_cbranch_execnz .LBB8_1366
; %bb.441:                              ;   in Loop: Header=BB8_436 Depth=2
	ds_load_b64 v[10:11], v0
	s_and_not1_b32 s37, s37, exec_lo
	s_mov_b32 s36, 0
	s_mov_b32 s38, -1
	s_waitcnt lgkmcnt(0)
	flat_load_b32 v1, v[10:11] glc
	s_waitcnt vmcnt(0) lgkmcnt(0)
	buffer_gl1_inv
	buffer_gl0_inv
	v_cmp_eq_u32_e32 vcc_lo, 0, v1
	s_and_b32 vcc_lo, vcc_lo, exec_lo
	s_delay_alu instid0(SALU_CYCLE_1)
	s_or_b32 s37, s37, vcc_lo
	s_branch .LBB8_437
.LBB8_442:                              ;   in Loop: Header=BB8_107 Depth=1
	s_or_b32 exec_lo, exec_lo, s31
	s_and_saveexec_b32 vcc_lo, s34
	s_delay_alu instid0(SALU_CYCLE_1)
	s_xor_b32 vcc_lo, exec_lo, vcc_lo
	s_cbranch_execz .LBB8_444
; %bb.443:                              ;   in Loop: Header=BB8_107 Depth=1
	ds_store_b32 v0, v97
	s_cbranch_execnz .LBB8_1547
.LBB8_444:                              ;   in Loop: Header=BB8_107 Depth=1
	s_or_b32 exec_lo, exec_lo, s30
	;;#ASMSTART
	s_wakeup
	;;#ASMEND
.LBB8_445:                              ;   in Loop: Header=BB8_107 Depth=1
	s_or_b32 exec_lo, exec_lo, vcc_hi
.LBB8_446:                              ;   in Loop: Header=BB8_107 Depth=1
	s_and_not1_saveexec_b32 s17, s17
	s_cbranch_execz .LBB8_448
; %bb.447:                              ;   in Loop: Header=BB8_107 Depth=1
	s_waitcnt lgkmcnt(0)
	s_waitcnt_vscnt null, 0x0
	buffer_gl1_inv
	buffer_gl0_inv
	s_barrier
.LBB8_448:                              ;   in Loop: Header=BB8_107 Depth=1
	s_or_b32 exec_lo, exec_lo, s17
.LBB8_449:                              ;   in Loop: Header=BB8_107 Depth=1
	s_delay_alu instid0(SALU_CYCLE_1)
	s_or_b32 exec_lo, exec_lo, s16
	s_cbranch_execnz .LBB8_1175
; %bb.450:                              ;   in Loop: Header=BB8_107 Depth=1
	ds_load_b32 v10, v0
	v_and_b32_e32 v1, 0x4000, v48
	s_delay_alu instid0(VALU_DEP_1) | instskip(SKIP_1) | instid1(SALU_CYCLE_1)
	v_cmp_ne_u32_e32 vcc_lo, 0, v1
	s_and_b32 s17, s27, vcc_lo
	s_and_saveexec_b32 s16, s17
	s_cbranch_execz .LBB8_472
; %bb.451:                              ;   in Loop: Header=BB8_107 Depth=1
	s_and_saveexec_b32 s17, s4
	s_delay_alu instid0(SALU_CYCLE_1)
	s_xor_b32 s17, exec_lo, s17
	s_cbranch_execz .LBB8_469
; %bb.452:                              ;   in Loop: Header=BB8_107 Depth=1
	s_and_saveexec_b32 vcc_hi, s5
	s_cbranch_execz .LBB8_468
; %bb.453:                              ;   in Loop: Header=BB8_107 Depth=1
	s_mov_b32 s31, exec_lo
	s_mov_b32 s30, exec_lo
	v_mbcnt_lo_u32_b32 v1, s31, 0
	s_waitcnt lgkmcnt(0)
	s_waitcnt_vscnt null, 0x0
	buffer_gl1_inv
	buffer_gl0_inv
	v_cmpx_eq_u32_e32 0, v1
	s_cbranch_execz .LBB8_455
; %bb.454:                              ;   in Loop: Header=BB8_107 Depth=1
	s_bcnt1_i32_b32 vcc_lo, s31
	s_delay_alu instid0(SALU_CYCLE_1)
	v_mov_b32_e32 v1, vcc_lo
	ds_add_u64 v0, v[1:2]
	s_cbranch_execnz .LBB8_1350
.LBB8_455:                              ;   in Loop: Header=BB8_107 Depth=1
	s_or_b32 exec_lo, exec_lo, s30
	s_cbranch_execnz .LBB8_1332
; %bb.456:                              ;   in Loop: Header=BB8_107 Depth=1
	ds_load_b64 v[11:12], v0
	v_add_co_u32 v24, vcc_lo, v24, v54
	v_add_co_ci_u32_e32 v25, vcc_lo, 0, v25, vcc_lo
	s_mov_b32 s30, exec_lo
	s_waitcnt lgkmcnt(0)
	s_delay_alu instid0(VALU_DEP_1)
	v_cmpx_lt_u64_e64 v[11:12], v[24:25]
	s_cbranch_execz .LBB8_467
; %bb.457:                              ;   in Loop: Header=BB8_107 Depth=1
	s_mov_b32 s31, 0
	s_mov_b32 s36, 0
                                        ; implicit-def: $sgpr34
                                        ; implicit-def: $sgpr35
	s_branch .LBB8_459
.LBB8_458:                              ;   in Loop: Header=BB8_459 Depth=2
	s_or_b32 exec_lo, exec_lo, s38
	s_delay_alu instid0(SALU_CYCLE_1) | instskip(NEXT) | instid1(SALU_CYCLE_1)
	s_and_b32 vcc_lo, exec_lo, vcc_lo
	s_or_b32 s31, vcc_lo, s31
	s_and_not1_b32 vcc_lo, s34, exec_lo
	s_and_b32 s34, s35, exec_lo
	s_delay_alu instid0(SALU_CYCLE_1)
	s_or_b32 s34, vcc_lo, s34
	s_and_not1_b32 exec_lo, exec_lo, s31
	s_cbranch_execz .LBB8_465
.LBB8_459:                              ;   Parent Loop BB8_107 Depth=1
                                        ; =>  This Inner Loop Header: Depth=2
	s_add_i32 s36, s36, 1
                                        ; implicit-def: $sgpr38
	s_delay_alu instid0(SALU_CYCLE_1) | instskip(SKIP_1) | instid1(SALU_CYCLE_1)
	s_cmpk_lg_i32 s36, 0x2710
	s_cselect_b32 s37, -1, 0
	s_and_b32 vcc_lo, exec_lo, s37
	s_cbranch_vccz .LBB8_463
.LBB8_460:                              ;   in Loop: Header=BB8_459 Depth=2
	s_and_not1_b32 s35, s35, exec_lo
	s_and_b32 s38, s38, exec_lo
	s_mov_b32 vcc_lo, -1
	s_or_b32 s35, s35, s38
	s_and_saveexec_b32 s38, s37
	s_cbranch_execz .LBB8_458
; %bb.461:                              ;   in Loop: Header=BB8_459 Depth=2
	s_sleep 1
	s_cbranch_execnz .LBB8_1418
; %bb.462:                              ;   in Loop: Header=BB8_459 Depth=2
	ds_load_b64 v[11:12], v0
	s_and_not1_b32 s35, s35, exec_lo
	s_waitcnt lgkmcnt(0)
	v_cmp_ge_u64_e32 vcc_lo, v[11:12], v[24:25]
	s_or_not1_b32 vcc_lo, vcc_lo, exec_lo
	s_branch .LBB8_458
.LBB8_463:                              ;   in Loop: Header=BB8_459 Depth=2
	s_cbranch_execnz .LBB8_1455
; %bb.464:                              ;   in Loop: Header=BB8_459 Depth=2
	ds_load_b64 v[11:12], v0
	s_and_not1_b32 s37, s37, exec_lo
	s_mov_b32 s36, 0
	s_mov_b32 s38, -1
	s_waitcnt lgkmcnt(0)
	flat_load_b32 v1, v[11:12] glc
	s_waitcnt vmcnt(0) lgkmcnt(0)
	buffer_gl1_inv
	buffer_gl0_inv
	v_cmp_eq_u32_e32 vcc_lo, 0, v1
	s_and_b32 vcc_lo, vcc_lo, exec_lo
	s_delay_alu instid0(SALU_CYCLE_1)
	s_or_b32 s37, s37, vcc_lo
	s_branch .LBB8_460
.LBB8_465:                              ;   in Loop: Header=BB8_107 Depth=1
	s_or_b32 exec_lo, exec_lo, s31
	s_and_saveexec_b32 vcc_lo, s34
	s_delay_alu instid0(SALU_CYCLE_1)
	s_xor_b32 vcc_lo, exec_lo, vcc_lo
	s_cbranch_execz .LBB8_467
; %bb.466:                              ;   in Loop: Header=BB8_107 Depth=1
	ds_store_b32 v0, v97
	s_cbranch_execnz .LBB8_1571
.LBB8_467:                              ;   in Loop: Header=BB8_107 Depth=1
	s_or_b32 exec_lo, exec_lo, s30
	;;#ASMSTART
	s_wakeup
	;;#ASMEND
.LBB8_468:                              ;   in Loop: Header=BB8_107 Depth=1
	s_or_b32 exec_lo, exec_lo, vcc_hi
.LBB8_469:                              ;   in Loop: Header=BB8_107 Depth=1
	s_and_not1_saveexec_b32 s17, s17
	s_cbranch_execz .LBB8_471
; %bb.470:                              ;   in Loop: Header=BB8_107 Depth=1
	s_waitcnt lgkmcnt(0)
	s_waitcnt_vscnt null, 0x0
	buffer_gl1_inv
	buffer_gl0_inv
	s_barrier
.LBB8_471:                              ;   in Loop: Header=BB8_107 Depth=1
	s_or_b32 exec_lo, exec_lo, s17
.LBB8_472:                              ;   in Loop: Header=BB8_107 Depth=1
	s_delay_alu instid0(SALU_CYCLE_1)
	s_or_b32 exec_lo, exec_lo, s16
	s_cbranch_execnz .LBB8_1237
; %bb.473:                              ;   in Loop: Header=BB8_107 Depth=1
	ds_load_b64 v[11:12], v0
	v_min_i32_e32 v36, v36, v39
	s_waitcnt lgkmcnt(0)
	v_cmp_eq_u64_e32 vcc_lo, 0, v[11:12]
	s_or_b32 s16, vcc_lo, vcc_lo
	s_delay_alu instid0(SALU_CYCLE_1)
	s_and_b32 vcc_lo, exec_lo, s16
	s_mov_b32 s16, 0
	s_cbranch_vccnz .LBB8_506
; %bb.474:                              ;   in Loop: Header=BB8_107 Depth=1
	s_mov_b32 s16, -1
	s_and_saveexec_b32 s17, s6
	s_cbranch_execz .LBB8_476
; %bb.475:                              ;   in Loop: Header=BB8_107 Depth=1
	ds_load_b32 v1, v0 offset:720
	s_waitcnt lgkmcnt(0)
	v_and_b32_e32 v1, 15, v1
	s_delay_alu instid0(VALU_DEP_1)
	v_cmp_eq_u32_e32 vcc_lo, 0, v1
	s_or_not1_b32 s16, vcc_lo, exec_lo
.LBB8_476:                              ;   in Loop: Header=BB8_107 Depth=1
	s_or_b32 exec_lo, exec_lo, s17
	s_and_saveexec_b32 s17, s10
	s_cbranch_execz .LBB8_478
; %bb.477:                              ;   in Loop: Header=BB8_107 Depth=1
	ds_load_b32 v1, v0 offset:784
	s_waitcnt lgkmcnt(0)
	v_and_b32_e32 v1, 15, v1
	s_delay_alu instid0(VALU_DEP_1) | instskip(SKIP_3) | instid1(SALU_CYCLE_1)
	v_cmp_eq_u32_e32 vcc_lo, 0, v1
	s_and_b32 vcc_lo, s16, vcc_lo
	s_and_not1_b32 s16, s16, exec_lo
	s_and_b32 vcc_lo, vcc_lo, exec_lo
	s_or_b32 s16, s16, vcc_lo
.LBB8_478:                              ;   in Loop: Header=BB8_107 Depth=1
	s_or_b32 exec_lo, exec_lo, s17
	v_cmp_eq_u32_e32 vcc_lo, 0, v10
	s_xor_b32 s16, s16, -1
	v_mov_b32_e32 v101, v51
	v_cndmask_b32_e64 v11, 0, 1, s16
	;;#ASMSTART
	;;#ASMEND
	v_dual_cndmask_b32 v1, 0, v36 :: v_dual_mov_b32 v38, 0
	s_delay_alu instid0(VALU_DEP_2) | instskip(SKIP_1) | instid1(VALU_DEP_2)
	v_cmp_ne_u32_e32 vcc_lo, 0, v11
	s_mov_b32 s16, -1
	v_dual_mov_b32 v98, v0 :: v_dual_mov_b32 v37, v1
	s_cbranch_vccnz .LBB8_494
; %bb.479:                              ;   in Loop: Header=BB8_107 Depth=1
	v_ashrrev_i32_e32 v10, 31, v1
	s_mov_b32 s17, exec_lo
	s_delay_alu instid0(VALU_DEP_1) | instskip(NEXT) | instid1(VALU_DEP_1)
	v_lshrrev_b32_e32 v10, 21, v10
	v_add_nc_u32_e32 v10, v1, v10
	s_delay_alu instid0(VALU_DEP_1) | instskip(NEXT) | instid1(VALU_DEP_1)
	v_ashrrev_i32_e32 v37, 11, v10
	v_sub_nc_u32_e32 v99, v37, v51
	s_delay_alu instid0(VALU_DEP_1)
	v_cmpx_lt_i32_e32 0, v99
	s_cbranch_execz .LBB8_484
; %bb.480:                              ;   in Loop: Header=BB8_107 Depth=1
	s_cbranch_execnz .LBB8_1372
; %bb.481:                              ;   in Loop: Header=BB8_107 Depth=1
	ds_load_b64 v[10:11], v0
	s_mov_b32 vcc_hi, 0
	s_waitcnt lgkmcnt(0)
	v_dual_mov_b32 v13, v11 :: v_dual_mov_b32 v12, v10
	s_set_inst_prefetch_distance 0x1
.LBB8_482:                              ;   Parent Loop BB8_107 Depth=1
                                        ; =>  This Inner Loop Header: Depth=2
	s_delay_alu instid0(VALU_DEP_1) | instskip(NEXT) | instid1(VALU_DEP_2)
	v_add_co_u32 v128, vcc_lo, v83, v12
	v_add_co_ci_u32_e32 v129, vcc_lo, v86, v13, vcc_lo
	v_add_co_u32 v132, vcc_lo, v83, v10
	v_sub_nc_u32_e32 v99, v99, v54
	s_clause 0x3
	global_load_b128 v[100:103], v[128:129], off slc dlc
	global_load_b128 v[112:115], v[128:129], off offset:512 slc dlc
	global_load_b128 v[116:119], v[128:129], off offset:1024 slc dlc
	;; [unrolled: 1-line block ×3, first 2 shown]
	v_add_co_ci_u32_e32 v133, vcc_lo, v86, v11, vcc_lo
	v_add_co_u32 v12, vcc_lo, v12, v87
	v_add_co_ci_u32_e32 v13, vcc_lo, v13, v96, vcc_lo
	v_add_co_u32 v10, vcc_lo, v10, v87
	v_cmp_gt_i32_e64 s16, 1, v99
	v_add_co_ci_u32_e32 v11, vcc_lo, v11, v96, vcc_lo
	s_waitcnt vmcnt(3)
	global_store_b128 v[132:133], v[100:103], off glc slc dlc
	s_waitcnt vmcnt(2)
	global_store_b128 v[132:133], v[112:115], off offset:512 glc slc dlc
	s_waitcnt vmcnt(1)
	global_store_b128 v[132:133], v[116:119], off offset:1024 glc slc dlc
	;; [unrolled: 2-line block ×3, first 2 shown]
	s_or_b32 vcc_hi, s16, vcc_hi
	s_delay_alu instid0(SALU_CYCLE_1)
	s_and_not1_b32 exec_lo, exec_lo, vcc_hi
	s_cbranch_execnz .LBB8_482
; %bb.483:                              ;   in Loop: Header=BB8_107 Depth=1
	s_set_inst_prefetch_distance 0x2
	s_or_b32 exec_lo, exec_lo, vcc_hi
.LBB8_484:                              ;   in Loop: Header=BB8_107 Depth=1
	s_delay_alu instid0(SALU_CYCLE_1) | instskip(SKIP_4) | instid1(VALU_DEP_2)
	s_or_b32 exec_lo, exec_lo, s17
	v_lshlrev_b32_e32 v12, 11, v37
	v_mov_b32_e32 v38, 0
	s_mov_b32 s16, 0
	s_mov_b32 vcc_hi, exec_lo
                                        ; implicit-def: $vgpr37
                                        ; implicit-def: $vgpr98
                                        ; implicit-def: $vgpr101
	v_cmpx_ne_u32_e64 v1, v12
	s_cbranch_execz .LBB8_493
; %bb.485:                              ;   in Loop: Header=BB8_107 Depth=1
	v_lshlrev_b32_e32 v10, 5, v99
	v_sub_nc_u32_e32 v37, v1, v12
	s_mov_b32 s30, exec_lo
	s_delay_alu instid0(VALU_DEP_2) | instskip(NEXT) | instid1(VALU_DEP_2)
	v_sub_nc_u32_e32 v10, v53, v10
	v_ashrrev_i32_e32 v13, 31, v37
	s_delay_alu instid0(VALU_DEP_2) | instskip(NEXT) | instid1(VALU_DEP_2)
	v_ashrrev_i32_e32 v11, 31, v10
	v_lshrrev_b32_e32 v13, 23, v13
	s_delay_alu instid0(VALU_DEP_2) | instskip(NEXT) | instid1(VALU_DEP_2)
	v_lshrrev_b32_e32 v11, 27, v11
	v_add_nc_u32_e32 v98, v37, v13
	s_delay_alu instid0(VALU_DEP_2) | instskip(NEXT) | instid1(VALU_DEP_2)
	v_add_nc_u32_e32 v11, v10, v11
	v_and_b32_e32 v13, 0xfffffe00, v98
	v_ashrrev_i32_e32 v98, 9, v98
	s_delay_alu instid0(VALU_DEP_3) | instskip(NEXT) | instid1(VALU_DEP_3)
	v_and_b32_e32 v38, 0xffffffe0, v11
	v_sub_nc_u32_e32 v100, v37, v13
	s_delay_alu instid0(VALU_DEP_2) | instskip(SKIP_1) | instid1(VALU_DEP_3)
	v_sub_nc_u32_e32 v99, v10, v38
	v_ashrrev_i32_e32 v10, 5, v11
	v_cmp_lt_i32_e32 vcc_lo, 15, v100
	s_delay_alu instid0(VALU_DEP_3) | instskip(NEXT) | instid1(VALU_DEP_1)
	v_lshlrev_b32_e32 v11, 4, v99
	v_lshl_add_u32 v38, v10, 9, v11
	v_add_co_ci_u32_e64 v11, s16, 0, v98, vcc_lo
	s_delay_alu instid0(VALU_DEP_2) | instskip(NEXT) | instid1(VALU_DEP_2)
	v_sub_nc_u32_e32 v37, v37, v38
	v_sub_nc_u32_e32 v102, v11, v10
	s_delay_alu instid0(VALU_DEP_2)
	v_cmpx_lt_i32_e32 15, v37
	s_cbranch_execz .LBB8_490
; %bb.486:                              ;   in Loop: Header=BB8_107 Depth=1
	s_cbranch_execnz .LBB8_1473
; %bb.487:                              ;   in Loop: Header=BB8_107 Depth=1
	ds_load_b64 v[10:11], v0
	v_add_nc_u32_e32 v38, v38, v12
	s_mov_b32 s31, 0
	s_delay_alu instid0(VALU_DEP_1)
	v_ashrrev_i32_e32 v98, 31, v38
.LBB8_488:                              ;   Parent Loop BB8_107 Depth=1
                                        ; =>  This Inner Loop Header: Depth=2
	s_waitcnt lgkmcnt(0)
	v_add_co_u32 v116, s16, v10, v38
	s_delay_alu instid0(VALU_DEP_1)
	v_add_co_ci_u32_e64 v117, s16, v11, v98, s16
	v_sub_nc_u32_e32 v37, v37, v64
	v_add_co_u32 v38, s17, v38, v80
	global_load_b128 v[112:115], v[116:117], off slc dlc
	v_sub_nc_u32_e32 v102, v102, v54
	v_cmp_gt_i32_e64 s16, 16, v37
	v_add_co_ci_u32_e64 v98, s17, v98, v81, s17
	s_delay_alu instid0(VALU_DEP_2)
	s_or_b32 s31, s16, s31
	s_waitcnt vmcnt(0)
	global_store_b128 v[116:117], v[112:115], off glc slc dlc
	s_and_not1_b32 exec_lo, exec_lo, s31
	s_cbranch_execnz .LBB8_488
; %bb.489:                              ;   in Loop: Header=BB8_107 Depth=1
	s_or_b32 exec_lo, exec_lo, s31
.LBB8_490:                              ;   in Loop: Header=BB8_107 Depth=1
	s_delay_alu instid0(SALU_CYCLE_1) | instskip(SKIP_3) | instid1(VALU_DEP_1)
	s_or_b32 exec_lo, exec_lo, s30
	v_and_b32_e32 v10, 15, v1
	s_mov_b32 s17, 0
	s_mov_b32 s30, exec_lo
                                        ; implicit-def: $vgpr98
                                        ; implicit-def: $vgpr101
	v_dual_mov_b32 v38, 0 :: v_dual_cndmask_b32 v37, v100, v10
	s_delay_alu instid0(VALU_DEP_1)
	v_cmpx_ne_u32_e32 0, v37
; %bb.491:                              ;   in Loop: Header=BB8_107 Depth=1
	v_cmp_lt_i32_e64 s16, 0, v102
	v_sub_nc_u32_e32 v10, v100, v10
	s_mov_b32 s17, exec_lo
	s_delay_alu instid0(VALU_DEP_2) | instskip(NEXT) | instid1(VALU_DEP_1)
	v_cndmask_b32_e64 v11, 0, v54, s16
	v_sub_nc_u32_e32 v11, v11, v102
	s_delay_alu instid0(VALU_DEP_1) | instskip(NEXT) | instid1(VALU_DEP_1)
	v_lshl_add_u32 v98, v11, 5, v99
	v_ashrrev_i32_e32 v11, 31, v98
	s_delay_alu instid0(VALU_DEP_1) | instskip(NEXT) | instid1(VALU_DEP_1)
	v_lshrrev_b32_e32 v11, 27, v11
	v_dual_cndmask_b32 v10, 0, v10 :: v_dual_add_nc_u32 v11, v98, v11
	s_delay_alu instid0(VALU_DEP_1) | instskip(NEXT) | instid1(VALU_DEP_2)
	v_add3_u32 v38, v13, v12, v10
	v_ashrrev_i32_e32 v101, 5, v11
; %bb.492:                              ;   in Loop: Header=BB8_107 Depth=1
	s_or_b32 exec_lo, exec_lo, s30
	s_delay_alu instid0(SALU_CYCLE_1)
	s_and_b32 s16, s17, exec_lo
.LBB8_493:                              ;   in Loop: Header=BB8_107 Depth=1
	s_or_b32 exec_lo, exec_lo, vcc_hi
.LBB8_494:                              ;   in Loop: Header=BB8_107 Depth=1
	s_and_saveexec_b32 s17, s16
	s_cbranch_execz .LBB8_505
; %bb.495:                              ;   in Loop: Header=BB8_107 Depth=1
	s_delay_alu instid0(VALU_DEP_1) | instskip(SKIP_1) | instid1(VALU_DEP_1)
	v_ashrrev_i32_e32 v10, 31, v37
	s_mov_b32 s16, exec_lo
	v_lshrrev_b32_e32 v10, 23, v10
	s_delay_alu instid0(VALU_DEP_1) | instskip(NEXT) | instid1(VALU_DEP_1)
	v_add_nc_u32_e32 v10, v37, v10
	v_ashrrev_i32_e32 v100, 9, v10
	s_delay_alu instid0(VALU_DEP_1) | instskip(NEXT) | instid1(VALU_DEP_1)
	v_sub_nc_u32_e32 v99, v100, v101
	v_cmpx_lt_i32_e32 0, v99
	s_cbranch_execz .LBB8_500
; %bb.496:                              ;   in Loop: Header=BB8_107 Depth=1
	s_cbranch_execnz .LBB8_1358
; %bb.497:                              ;   in Loop: Header=BB8_107 Depth=1
	v_ashrrev_i32_e32 v10, 31, v98
	s_mov_b32 vcc_hi, 0
	s_delay_alu instid0(VALU_DEP_1) | instskip(NEXT) | instid1(VALU_DEP_1)
	v_lshrrev_b32_e32 v10, 27, v10
	v_add_nc_u32_e32 v12, v98, v10
	ds_load_b64 v[10:11], v0
	v_lshlrev_b32_e32 v13, 9, v101
	v_and_b32_e32 v12, 0xffffffe0, v12
	s_delay_alu instid0(VALU_DEP_1) | instskip(NEXT) | instid1(VALU_DEP_1)
	v_sub_nc_u32_e32 v12, v98, v12
	v_add3_u32 v101, v38, v12, v13
	s_delay_alu instid0(VALU_DEP_1)
	v_ashrrev_i32_e32 v102, 31, v101
	s_waitcnt lgkmcnt(0)
	v_dual_mov_b32 v13, v11 :: v_dual_mov_b32 v12, v10
.LBB8_498:                              ;   Parent Loop BB8_107 Depth=1
                                        ; =>  This Inner Loop Header: Depth=2
	s_delay_alu instid0(VALU_DEP_1) | instskip(NEXT) | instid1(VALU_DEP_2)
	v_add_co_u32 v112, vcc_lo, v101, v12
	v_add_co_ci_u32_e32 v113, vcc_lo, v102, v13, vcc_lo
	v_sub_nc_u32_e32 v99, v99, v54
	s_clause 0xf
	flat_load_u8 v103, v[112:113] slc dlc
	flat_load_u8 v114, v[112:113] offset:32 slc dlc
	flat_load_u8 v115, v[112:113] offset:64 slc dlc
	;; [unrolled: 1-line block ×15, first 2 shown]
	v_add_co_u32 v112, vcc_lo, v101, v10
	v_add_co_ci_u32_e32 v113, vcc_lo, v102, v11, vcc_lo
	v_add_co_u32 v12, vcc_lo, v12, v80
	v_add_co_ci_u32_e32 v13, vcc_lo, v13, v81, vcc_lo
	;; [unrolled: 2-line block ×3, first 2 shown]
	v_cmp_gt_i32_e32 vcc_lo, 1, v99
	s_waitcnt vmcnt(15) lgkmcnt(15)
	flat_store_b8 v[112:113], v103 glc slc dlc
	s_waitcnt vmcnt(14) lgkmcnt(15)
	flat_store_b8 v[112:113], v114 offset:32 glc slc dlc
	s_waitcnt vmcnt(13) lgkmcnt(15)
	flat_store_b8 v[112:113], v115 offset:64 glc slc dlc
	;; [unrolled: 2-line block ×15, first 2 shown]
	s_or_b32 vcc_hi, vcc_lo, vcc_hi
	s_delay_alu instid0(SALU_CYCLE_1)
	s_and_not1_b32 exec_lo, exec_lo, vcc_hi
	s_cbranch_execnz .LBB8_498
; %bb.499:                              ;   in Loop: Header=BB8_107 Depth=1
	s_or_b32 exec_lo, exec_lo, vcc_hi
.LBB8_500:                              ;   in Loop: Header=BB8_107 Depth=1
	s_delay_alu instid0(SALU_CYCLE_1) | instskip(SKIP_1) | instid1(VALU_DEP_1)
	s_or_b32 exec_lo, exec_lo, s16
	v_lshlrev_b32_e32 v10, 9, v100
	v_cmp_ne_u32_e32 vcc_lo, v37, v10
	s_and_b32 exec_lo, exec_lo, vcc_lo
	s_cbranch_execz .LBB8_505
; %bb.501:                              ;   in Loop: Header=BB8_107 Depth=1
	v_ashrrev_i32_e32 v11, 31, v98
	v_lshlrev_b32_e32 v12, 5, v99
	s_delay_alu instid0(VALU_DEP_2) | instskip(NEXT) | instid1(VALU_DEP_1)
	v_lshrrev_b32_e32 v11, 27, v11
	v_add_nc_u32_e32 v11, v98, v11
	s_delay_alu instid0(VALU_DEP_1) | instskip(NEXT) | instid1(VALU_DEP_1)
	v_and_b32_e32 v11, 0xffffffe0, v11
	v_sub_nc_u32_e32 v11, v98, v11
	s_delay_alu instid0(VALU_DEP_1) | instskip(NEXT) | instid1(VALU_DEP_1)
	v_sub_nc_u32_e32 v11, v11, v12
	v_add_nc_u32_e32 v13, v10, v11
	s_delay_alu instid0(VALU_DEP_1) | instskip(NEXT) | instid1(VALU_DEP_1)
	v_sub_nc_u32_e32 v12, v37, v13
	v_cmp_lt_i32_e32 vcc_lo, 0, v12
	s_and_b32 exec_lo, exec_lo, vcc_lo
	s_cbranch_execz .LBB8_505
; %bb.502:                              ;   in Loop: Header=BB8_107 Depth=1
	s_cbranch_execnz .LBB8_1463
; %bb.503:                              ;   in Loop: Header=BB8_107 Depth=1
	ds_load_b64 v[10:11], v0
	v_add_nc_u32_e32 v13, v13, v38
	s_mov_b32 vcc_hi, 0
	s_delay_alu instid0(VALU_DEP_1)
	v_ashrrev_i32_e32 v37, 31, v13
.LBB8_504:                              ;   Parent Loop BB8_107 Depth=1
                                        ; =>  This Inner Loop Header: Depth=2
	s_waitcnt lgkmcnt(0)
	v_add_co_u32 v98, vcc_lo, v10, v13
	s_delay_alu instid0(VALU_DEP_2)
	v_add_co_ci_u32_e32 v99, vcc_lo, v11, v37, vcc_lo
	v_sub_nc_u32_e32 v12, v12, v67
	v_add_co_u32 v13, s16, v13, v84
	flat_load_u8 v38, v[98:99] slc dlc
	v_add_co_ci_u32_e64 v37, s16, v37, v85, s16
	v_cmp_gt_i32_e32 vcc_lo, 1, v12
	s_or_b32 vcc_hi, vcc_lo, vcc_hi
	s_waitcnt vmcnt(0) lgkmcnt(0)
	flat_store_b8 v[98:99], v38 glc slc dlc
	s_and_not1_b32 exec_lo, exec_lo, vcc_hi
	s_cbranch_execnz .LBB8_504
.LBB8_505:                              ;   in Loop: Header=BB8_107 Depth=1
	s_or_b32 exec_lo, exec_lo, s17
	v_cmp_lt_i32_e64 s16, 0, v1
.LBB8_506:                              ;   in Loop: Header=BB8_107 Depth=1
	s_and_saveexec_b32 s17, s3
	s_cbranch_execz .LBB8_528
; %bb.507:                              ;   in Loop: Header=BB8_107 Depth=1
	s_and_saveexec_b32 vcc_lo, s4
	s_delay_alu instid0(SALU_CYCLE_1)
	s_xor_b32 vcc_hi, exec_lo, vcc_lo
	s_cbranch_execz .LBB8_525
; %bb.508:                              ;   in Loop: Header=BB8_107 Depth=1
	s_and_saveexec_b32 s30, s5
	s_cbranch_execz .LBB8_524
; %bb.509:                              ;   in Loop: Header=BB8_107 Depth=1
	s_mov_b32 s34, exec_lo
	s_mov_b32 s31, exec_lo
	v_mbcnt_lo_u32_b32 v1, s34, 0
	s_waitcnt lgkmcnt(0)
	s_waitcnt_vscnt null, 0x0
	buffer_gl1_inv
	buffer_gl0_inv
	v_cmpx_eq_u32_e32 0, v1
	s_cbranch_execz .LBB8_511
; %bb.510:                              ;   in Loop: Header=BB8_107 Depth=1
	s_bcnt1_i32_b32 vcc_lo, s34
	s_delay_alu instid0(SALU_CYCLE_1)
	v_mov_b32_e32 v1, vcc_lo
	ds_add_u64 v0, v[1:2]
	s_cbranch_execnz .LBB8_1422
.LBB8_511:                              ;   in Loop: Header=BB8_107 Depth=1
	s_or_b32 exec_lo, exec_lo, s31
	s_cbranch_execnz .LBB8_1380
; %bb.512:                              ;   in Loop: Header=BB8_107 Depth=1
	ds_load_b64 v[10:11], v0
	v_add_co_u32 v24, vcc_lo, v24, v54
	v_add_co_ci_u32_e32 v25, vcc_lo, 0, v25, vcc_lo
	s_mov_b32 s31, exec_lo
	s_waitcnt lgkmcnt(0)
	s_delay_alu instid0(VALU_DEP_1)
	v_cmpx_lt_u64_e64 v[10:11], v[24:25]
	s_cbranch_execz .LBB8_523
; %bb.513:                              ;   in Loop: Header=BB8_107 Depth=1
	s_mov_b32 s34, 0
	s_mov_b32 s37, 0
                                        ; implicit-def: $sgpr35
                                        ; implicit-def: $sgpr36
	s_branch .LBB8_515
.LBB8_514:                              ;   in Loop: Header=BB8_515 Depth=2
	s_or_b32 exec_lo, exec_lo, s39
	s_delay_alu instid0(SALU_CYCLE_1) | instskip(NEXT) | instid1(SALU_CYCLE_1)
	s_and_b32 vcc_lo, exec_lo, vcc_lo
	s_or_b32 s34, vcc_lo, s34
	s_and_not1_b32 vcc_lo, s35, exec_lo
	s_and_b32 s35, s36, exec_lo
	s_delay_alu instid0(SALU_CYCLE_1)
	s_or_b32 s35, vcc_lo, s35
	s_and_not1_b32 exec_lo, exec_lo, s34
	s_cbranch_execz .LBB8_521
.LBB8_515:                              ;   Parent Loop BB8_107 Depth=1
                                        ; =>  This Inner Loop Header: Depth=2
	s_add_i32 s37, s37, 1
                                        ; implicit-def: $sgpr39
	s_delay_alu instid0(SALU_CYCLE_1) | instskip(SKIP_1) | instid1(SALU_CYCLE_1)
	s_cmpk_lg_i32 s37, 0x2710
	s_cselect_b32 s38, -1, 0
	s_and_b32 vcc_lo, exec_lo, s38
	s_cbranch_vccz .LBB8_519
.LBB8_516:                              ;   in Loop: Header=BB8_515 Depth=2
	s_and_not1_b32 s36, s36, exec_lo
	s_and_b32 s39, s39, exec_lo
	s_mov_b32 vcc_lo, -1
	s_or_b32 s36, s36, s39
	s_and_saveexec_b32 s39, s38
	s_cbranch_execz .LBB8_514
; %bb.517:                              ;   in Loop: Header=BB8_515 Depth=2
	s_sleep 1
	s_cbranch_execnz .LBB8_1491
; %bb.518:                              ;   in Loop: Header=BB8_515 Depth=2
	ds_load_b64 v[10:11], v0
	s_and_not1_b32 s36, s36, exec_lo
	s_waitcnt lgkmcnt(0)
	v_cmp_ge_u64_e32 vcc_lo, v[10:11], v[24:25]
	s_or_not1_b32 vcc_lo, vcc_lo, exec_lo
	s_branch .LBB8_514
.LBB8_519:                              ;   in Loop: Header=BB8_515 Depth=2
	s_cbranch_execnz .LBB8_1501
; %bb.520:                              ;   in Loop: Header=BB8_515 Depth=2
	ds_load_b64 v[10:11], v0
	s_and_not1_b32 s38, s38, exec_lo
	s_mov_b32 s37, 0
	s_mov_b32 s39, -1
	s_waitcnt lgkmcnt(0)
	flat_load_b32 v1, v[10:11] glc
	s_waitcnt vmcnt(0) lgkmcnt(0)
	buffer_gl1_inv
	buffer_gl0_inv
	v_cmp_eq_u32_e32 vcc_lo, 0, v1
	s_and_b32 vcc_lo, vcc_lo, exec_lo
	s_delay_alu instid0(SALU_CYCLE_1)
	s_or_b32 s38, s38, vcc_lo
	s_branch .LBB8_516
.LBB8_521:                              ;   in Loop: Header=BB8_107 Depth=1
	s_or_b32 exec_lo, exec_lo, s34
	s_and_saveexec_b32 vcc_lo, s35
	s_delay_alu instid0(SALU_CYCLE_1)
	s_xor_b32 vcc_lo, exec_lo, vcc_lo
	s_cbranch_execz .LBB8_523
; %bb.522:                              ;   in Loop: Header=BB8_107 Depth=1
	ds_store_b32 v0, v97
	s_cbranch_execnz .LBB8_1575
.LBB8_523:                              ;   in Loop: Header=BB8_107 Depth=1
	s_or_b32 exec_lo, exec_lo, s31
	;;#ASMSTART
	s_wakeup
	;;#ASMEND
.LBB8_524:                              ;   in Loop: Header=BB8_107 Depth=1
	s_or_b32 exec_lo, exec_lo, s30
.LBB8_525:                              ;   in Loop: Header=BB8_107 Depth=1
	s_and_not1_saveexec_b32 vcc_lo, vcc_hi
	s_cbranch_execz .LBB8_527
; %bb.526:                              ;   in Loop: Header=BB8_107 Depth=1
	s_waitcnt lgkmcnt(0)
	s_waitcnt_vscnt null, 0x0
	buffer_gl1_inv
	buffer_gl0_inv
	s_barrier
.LBB8_527:                              ;   in Loop: Header=BB8_107 Depth=1
	s_or_b32 exec_lo, exec_lo, vcc_lo
.LBB8_528:                              ;   in Loop: Header=BB8_107 Depth=1
	s_delay_alu instid0(SALU_CYCLE_1) | instskip(SKIP_1) | instid1(SALU_CYCLE_1)
	s_or_b32 exec_lo, exec_lo, s17
	s_and_saveexec_b32 s17, s11
	s_xor_b32 s17, exec_lo, s17
	s_cbranch_execz .LBB8_532
; %bb.529:                              ;   in Loop: Header=BB8_107 Depth=1
	v_and_b32_e32 v1, 16, v48
	s_delay_alu instid0(VALU_DEP_1) | instskip(SKIP_1) | instid1(SALU_CYCLE_1)
	v_cmp_ne_u32_e32 vcc_lo, 0, v1
	s_and_b32 vcc_lo, vcc_lo, s16
	s_and_saveexec_b32 s16, vcc_lo
	s_cbranch_execz .LBB8_531
; %bb.530:                              ;   in Loop: Header=BB8_107 Depth=1
	s_waitcnt lgkmcnt(0)
	s_waitcnt_vscnt null, 0x0
	buffer_gl1_inv
	buffer_gl0_inv
.LBB8_531:                              ;   in Loop: Header=BB8_107 Depth=1
	s_or_b32 exec_lo, exec_lo, s16
.LBB8_532:                              ;   in Loop: Header=BB8_107 Depth=1
	s_and_not1_saveexec_b32 s16, s17
	s_cbranch_execz .LBB8_554
; %bb.533:                              ;   in Loop: Header=BB8_107 Depth=1
	s_and_saveexec_b32 s17, s4
	s_delay_alu instid0(SALU_CYCLE_1)
	s_xor_b32 s17, exec_lo, s17
	s_cbranch_execz .LBB8_551
; %bb.534:                              ;   in Loop: Header=BB8_107 Depth=1
	s_and_saveexec_b32 vcc_hi, s5
	s_cbranch_execz .LBB8_550
; %bb.535:                              ;   in Loop: Header=BB8_107 Depth=1
	s_mov_b32 s31, exec_lo
	s_mov_b32 s30, exec_lo
	v_mbcnt_lo_u32_b32 v1, s31, 0
	;;#ASMSTART
	s_waitcnt lgkmcnt(0) vmcnt(0)
	;;#ASMEND
	s_delay_alu instid0(VALU_DEP_1)
	v_cmpx_eq_u32_e32 0, v1
	s_cbranch_execz .LBB8_537
; %bb.536:                              ;   in Loop: Header=BB8_107 Depth=1
	s_bcnt1_i32_b32 vcc_lo, s31
	s_delay_alu instid0(SALU_CYCLE_1)
	v_mov_b32_e32 v1, vcc_lo
	ds_add_u64 v0, v[1:2]
	s_cbranch_execnz .LBB8_1443
.LBB8_537:                              ;   in Loop: Header=BB8_107 Depth=1
	s_or_b32 exec_lo, exec_lo, s30
	s_cbranch_execnz .LBB8_1388
; %bb.538:                              ;   in Loop: Header=BB8_107 Depth=1
	ds_load_b64 v[10:11], v0
	v_add_co_u32 v24, vcc_lo, v24, v54
	v_add_co_ci_u32_e32 v25, vcc_lo, 0, v25, vcc_lo
	s_mov_b32 s30, exec_lo
	s_waitcnt lgkmcnt(0)
	s_delay_alu instid0(VALU_DEP_1)
	v_cmpx_lt_u64_e64 v[10:11], v[24:25]
	s_cbranch_execz .LBB8_549
; %bb.539:                              ;   in Loop: Header=BB8_107 Depth=1
	s_mov_b32 s31, 0
	s_mov_b32 s36, 0
                                        ; implicit-def: $sgpr34
                                        ; implicit-def: $sgpr35
	s_branch .LBB8_541
.LBB8_540:                              ;   in Loop: Header=BB8_541 Depth=2
	s_or_b32 exec_lo, exec_lo, s38
	s_delay_alu instid0(SALU_CYCLE_1) | instskip(NEXT) | instid1(SALU_CYCLE_1)
	s_and_b32 vcc_lo, exec_lo, vcc_lo
	s_or_b32 s31, vcc_lo, s31
	s_and_not1_b32 vcc_lo, s34, exec_lo
	s_and_b32 s34, s35, exec_lo
	s_delay_alu instid0(SALU_CYCLE_1)
	s_or_b32 s34, vcc_lo, s34
	s_and_not1_b32 exec_lo, exec_lo, s31
	s_cbranch_execz .LBB8_547
.LBB8_541:                              ;   Parent Loop BB8_107 Depth=1
                                        ; =>  This Inner Loop Header: Depth=2
	s_add_i32 s36, s36, 1
                                        ; implicit-def: $sgpr38
	s_delay_alu instid0(SALU_CYCLE_1) | instskip(SKIP_1) | instid1(SALU_CYCLE_1)
	s_cmpk_lg_i32 s36, 0x2710
	s_cselect_b32 s37, -1, 0
	s_and_b32 vcc_lo, exec_lo, s37
	s_cbranch_vccz .LBB8_545
.LBB8_542:                              ;   in Loop: Header=BB8_541 Depth=2
	s_and_not1_b32 s35, s35, exec_lo
	s_and_b32 s38, s38, exec_lo
	s_mov_b32 vcc_lo, -1
	s_or_b32 s35, s35, s38
	s_and_saveexec_b32 s38, s37
	s_cbranch_execz .LBB8_540
; %bb.543:                              ;   in Loop: Header=BB8_541 Depth=2
	s_sleep 1
	s_cbranch_execnz .LBB8_1495
; %bb.544:                              ;   in Loop: Header=BB8_541 Depth=2
	ds_load_b64 v[10:11], v0
	s_and_not1_b32 s35, s35, exec_lo
	s_waitcnt lgkmcnt(0)
	v_cmp_ge_u64_e32 vcc_lo, v[10:11], v[24:25]
	s_or_not1_b32 vcc_lo, vcc_lo, exec_lo
	s_branch .LBB8_540
.LBB8_545:                              ;   in Loop: Header=BB8_541 Depth=2
	s_cbranch_execnz .LBB8_1509
; %bb.546:                              ;   in Loop: Header=BB8_541 Depth=2
	ds_load_b64 v[10:11], v0
	s_and_not1_b32 s37, s37, exec_lo
	s_mov_b32 s36, 0
	s_mov_b32 s38, -1
	s_waitcnt lgkmcnt(0)
	s_waitcnt_vscnt null, 0x0
	flat_load_b32 v1, v[10:11] glc
	s_waitcnt vmcnt(0) lgkmcnt(0)
	buffer_gl1_inv
	buffer_gl0_inv
	v_cmp_eq_u32_e32 vcc_lo, 0, v1
	s_and_b32 vcc_lo, vcc_lo, exec_lo
	s_delay_alu instid0(SALU_CYCLE_1)
	s_or_b32 s37, s37, vcc_lo
	s_branch .LBB8_542
.LBB8_547:                              ;   in Loop: Header=BB8_107 Depth=1
	s_or_b32 exec_lo, exec_lo, s31
	s_and_saveexec_b32 vcc_lo, s34
	s_delay_alu instid0(SALU_CYCLE_1)
	s_xor_b32 vcc_lo, exec_lo, vcc_lo
	s_cbranch_execz .LBB8_549
; %bb.548:                              ;   in Loop: Header=BB8_107 Depth=1
	ds_store_b32 v0, v97
	s_cbranch_execnz .LBB8_1577
.LBB8_549:                              ;   in Loop: Header=BB8_107 Depth=1
	s_or_b32 exec_lo, exec_lo, s30
	;;#ASMSTART
	s_wakeup
	;;#ASMEND
.LBB8_550:                              ;   in Loop: Header=BB8_107 Depth=1
	s_or_b32 exec_lo, exec_lo, vcc_hi
.LBB8_551:                              ;   in Loop: Header=BB8_107 Depth=1
	s_and_not1_saveexec_b32 s17, s17
	s_cbranch_execz .LBB8_553
; %bb.552:                              ;   in Loop: Header=BB8_107 Depth=1
	;;#ASMSTART
	s_waitcnt lgkmcnt(0) vmcnt(0)
	;;#ASMEND
	s_waitcnt lgkmcnt(0)
	s_waitcnt_vscnt null, 0x0
	s_barrier
.LBB8_553:                              ;   in Loop: Header=BB8_107 Depth=1
	s_or_b32 exec_lo, exec_lo, s17
.LBB8_554:                              ;   in Loop: Header=BB8_107 Depth=1
	s_delay_alu instid0(SALU_CYCLE_1) | instskip(SKIP_2) | instid1(VALU_DEP_1)
	s_or_b32 exec_lo, exec_lo, s16
	v_and_b32_e32 v1, 32, v48
	s_mov_b32 s16, exec_lo
	v_cmpx_ne_u32_e32 0, v1
	s_cbranch_execz .LBB8_556
; %bb.555:                              ;   in Loop: Header=BB8_107 Depth=1
	v_add_co_u32 v8, vcc_lo, v8, 1
	v_add_co_ci_u32_e32 v9, vcc_lo, 0, v9, vcc_lo
	s_waitcnt lgkmcnt(0)
	s_waitcnt_vscnt null, 0x0
	flat_store_b64 v[20:21], v[8:9]
.LBB8_556:                              ;   in Loop: Header=BB8_107 Depth=1
	s_or_b32 exec_lo, exec_lo, s16
	v_mov_b32_e32 v37, v36
.LBB8_557:                              ;   in Loop: Header=BB8_107 Depth=1
	s_or_b32 exec_lo, exec_lo, s28
	s_mov_b32 s16, s18
	s_and_saveexec_b32 s17, s14
	s_cbranch_execz .LBB8_632
; %bb.558:                              ;   in Loop: Header=BB8_107 Depth=1
	v_and_b32_e32 v1, 4, v48
	s_mov_b32 s28, -1
	s_mov_b32 s16, exec_lo
	s_delay_alu instid0(VALU_DEP_1)
	v_cmpx_ne_u32_e32 0, v1
	s_cbranch_execz .LBB8_572
; %bb.559:                              ;   in Loop: Header=BB8_107 Depth=1
	v_add_co_u32 v10, vcc_lo, v8, 1
	v_add_co_ci_u32_e32 v11, vcc_lo, 0, v9, vcc_lo
	v_mov_b32_e32 v1, 1
	s_mov_b32 s28, exec_lo
	s_delay_alu instid0(VALU_DEP_2)
	v_cmpx_lt_u64_e64 v[28:29], v[10:11]
	s_cbranch_execz .LBB8_571
; %bb.560:                              ;   in Loop: Header=BB8_107 Depth=1
	v_mov_b32_e32 v1, 0
	s_mov_b32 vcc_hi, 0
                                        ; implicit-def: $sgpr30
	s_branch .LBB8_564
.LBB8_561:                              ;   in Loop: Header=BB8_564 Depth=2
	s_or_b32 exec_lo, exec_lo, s36
	v_mov_b32_e32 v12, 0
	s_or_not1_b32 s35, s35, exec_lo
.LBB8_562:                              ;   in Loop: Header=BB8_564 Depth=2
	s_or_b32 exec_lo, exec_lo, s34
	s_delay_alu instid0(VALU_DEP_1) | instskip(SKIP_2) | instid1(SALU_CYCLE_1)
	v_mov_b32_e32 v1, v12
	s_and_not1_b32 vcc_lo, s30, exec_lo
	s_and_b32 s30, s35, exec_lo
	s_or_b32 s30, vcc_lo, s30
.LBB8_563:                              ;   in Loop: Header=BB8_564 Depth=2
	s_or_b32 exec_lo, exec_lo, s31
	s_waitcnt vmcnt(0) lgkmcnt(0)
	v_cmp_ge_u64_e32 vcc_lo, v[28:29], v[10:11]
	s_xor_b32 s31, s30, -1
	s_delay_alu instid0(SALU_CYCLE_1) | instskip(NEXT) | instid1(SALU_CYCLE_1)
	s_or_b32 vcc_lo, s31, vcc_lo
	s_and_b32 vcc_lo, exec_lo, vcc_lo
	s_delay_alu instid0(SALU_CYCLE_1) | instskip(NEXT) | instid1(SALU_CYCLE_1)
	s_or_b32 vcc_hi, vcc_lo, vcc_hi
	s_and_not1_b32 exec_lo, exec_lo, vcc_hi
	s_cbranch_execz .LBB8_570
.LBB8_564:                              ;   Parent Loop BB8_107 Depth=1
                                        ; =>  This Inner Loop Header: Depth=2
	s_sleep 1
	flat_load_b64 v[28:29], v[20:21] glc
	v_and_b32_e32 v12, 64, v48
	s_and_not1_b32 s30, s30, exec_lo
	s_mov_b32 s31, exec_lo
	s_delay_alu instid0(VALU_DEP_1)
	v_cmpx_eq_u32_e32 0, v12
	s_cbranch_execz .LBB8_563
; %bb.565:                              ;   in Loop: Header=BB8_564 Depth=2
	v_add_nc_u32_e32 v12, 1, v1
	s_mov_b32 s35, -1
	s_mov_b32 s34, exec_lo
	v_cmpx_lt_i32_e32 0x270e, v1
	s_cbranch_execz .LBB8_562
; %bb.566:                              ;   in Loop: Header=BB8_564 Depth=2
	s_cbranch_execnz .LBB8_1256
; %bb.567:                              ;   in Loop: Header=BB8_564 Depth=2
	ds_load_b64 v[12:13], v0
	s_mov_b32 s36, exec_lo
	s_waitcnt vmcnt(0) lgkmcnt(0)
	s_waitcnt_vscnt null, 0x0
	flat_load_b32 v1, v[12:13] glc
	s_waitcnt vmcnt(0) lgkmcnt(0)
	buffer_gl1_inv
	buffer_gl0_inv
	v_cmpx_ne_u32_e32 0, v1
	s_cbranch_execz .LBB8_561
; %bb.568:                              ;   in Loop: Header=BB8_564 Depth=2
	ds_store_b32 v0, v1
	s_cbranch_execnz .LBB8_1292
; %bb.569:                              ;   in Loop: Header=BB8_564 Depth=2
	v_or_b32_e32 v48, 64, v48
	s_xor_b32 s35, exec_lo, -1
	s_branch .LBB8_561
.LBB8_570:                              ;   in Loop: Header=BB8_107 Depth=1
	s_or_b32 exec_lo, exec_lo, vcc_hi
	v_and_b32_e32 v1, 4, v48
.LBB8_571:                              ;   in Loop: Header=BB8_107 Depth=1
	s_or_b32 exec_lo, exec_lo, s28
	s_delay_alu instid0(VALU_DEP_1)
	v_cmp_eq_u32_e32 vcc_lo, 0, v1
	;;#ASMSTART
	s_wakeup
	;;#ASMEND
	s_or_not1_b32 s28, vcc_lo, exec_lo
.LBB8_572:                              ;   in Loop: Header=BB8_107 Depth=1
	s_or_b32 exec_lo, exec_lo, s16
	s_xor_b32 s16, s28, -1
	s_delay_alu instid0(SALU_CYCLE_1)
	s_and_saveexec_b32 s28, s16
	s_cbranch_execz .LBB8_582
; %bb.573:                              ;   in Loop: Header=BB8_107 Depth=1
	v_and_b32_e32 v1, 0x100, v48
	s_mov_b32 s16, -1
                                        ; implicit-def: $vgpr10_vgpr11
	s_delay_alu instid0(VALU_DEP_1)
	v_cmp_ne_u32_e32 vcc_lo, 0, v1
	v_and_b32_e32 v1, 7, v8
	s_and_saveexec_b32 vcc_hi, vcc_lo
	s_cbranch_execz .LBB8_577
; %bb.574:                              ;   in Loop: Header=BB8_107 Depth=1
	s_delay_alu instid0(VALU_DEP_1) | instskip(SKIP_4) | instid1(VALU_DEP_1)
	v_mad_u64_u32 v[12:13], null, v1, 24, v[6:7]
	flat_load_b32 v10, v[12:13]
	s_waitcnt vmcnt(0) lgkmcnt(0)
	v_cmp_ne_u32_e32 vcc_lo, 1, v10
	v_cmp_eq_u32_e64 s16, 1, v10
                                        ; implicit-def: $vgpr10_vgpr11
	s_and_saveexec_b32 s30, s16
	s_cbranch_execz .LBB8_576
; %bb.575:                              ;   in Loop: Header=BB8_107 Depth=1
	flat_load_b32 v10, v[12:13] offset:4 glc
	s_waitcnt vmcnt(0) lgkmcnt(0)
	v_ashrrev_i32_e32 v11, 31, v10
.LBB8_576:                              ;   in Loop: Header=BB8_107 Depth=1
	s_or_b32 exec_lo, exec_lo, s30
	s_delay_alu instid0(SALU_CYCLE_1)
	s_or_not1_b32 s16, vcc_lo, exec_lo
.LBB8_577:                              ;   in Loop: Header=BB8_107 Depth=1
	s_or_b32 exec_lo, exec_lo, vcc_hi
	s_and_saveexec_b32 vcc_lo, s16
; %bb.578:                              ;   in Loop: Header=BB8_107 Depth=1
	v_mad_i64_i32 v[10:11], null, v1, v49, 0
; %bb.579:                              ;   in Loop: Header=BB8_107 Depth=1
	s_or_b32 exec_lo, exec_lo, vcc_lo
	s_delay_alu instid0(VALU_DEP_1) | instskip(SKIP_1) | instid1(VALU_DEP_3)
	v_add_co_u32 v10, vcc_lo, v22, v10
	v_and_b32_e32 v1, 0x2000, v48
	v_add_co_ci_u32_e32 v11, vcc_lo, v23, v11, vcc_lo
	s_mov_b32 s16, exec_lo
	ds_store_b64 v0, v[10:11] offset:720
	v_cmpx_ne_u32_e32 0, v1
	s_cbranch_execz .LBB8_581
; %bb.580:                              ;   in Loop: Header=BB8_107 Depth=1
	ds_load_b64 v[10:11], v0 offset:584
	s_waitcnt lgkmcnt(0)
	v_add_co_u32 v10, vcc_lo, v10, 1
	v_add_co_ci_u32_e32 v11, vcc_lo, 0, v11, vcc_lo
	ds_store_b64 v0, v[10:11] offset:584
.LBB8_581:                              ;   in Loop: Header=BB8_107 Depth=1
	s_or_b32 exec_lo, exec_lo, s16
	v_add_co_u32 v8, vcc_lo, v8, 1
	v_add_co_ci_u32_e32 v9, vcc_lo, 0, v9, vcc_lo
.LBB8_582:                              ;   in Loop: Header=BB8_107 Depth=1
	s_or_b32 exec_lo, exec_lo, s28
	s_and_saveexec_b32 s16, s3
	s_cbranch_execz .LBB8_604
; %bb.583:                              ;   in Loop: Header=BB8_107 Depth=1
	s_and_saveexec_b32 s28, s4
	s_delay_alu instid0(SALU_CYCLE_1)
	s_xor_b32 s28, exec_lo, s28
	s_cbranch_execz .LBB8_601
; %bb.584:                              ;   in Loop: Header=BB8_107 Depth=1
	s_and_saveexec_b32 vcc_hi, s5
	s_cbranch_execz .LBB8_600
; %bb.585:                              ;   in Loop: Header=BB8_107 Depth=1
	s_mov_b32 s31, exec_lo
	s_mov_b32 s30, exec_lo
	v_mbcnt_lo_u32_b32 v1, s31, 0
	s_waitcnt lgkmcnt(0)
	s_waitcnt_vscnt null, 0x0
	buffer_gl1_inv
	buffer_gl0_inv
	v_cmpx_eq_u32_e32 0, v1
	s_cbranch_execz .LBB8_587
; %bb.586:                              ;   in Loop: Header=BB8_107 Depth=1
	s_bcnt1_i32_b32 vcc_lo, s31
	s_delay_alu instid0(SALU_CYCLE_1)
	v_mov_b32_e32 v1, vcc_lo
	ds_add_u64 v0, v[1:2]
	s_cbranch_execnz .LBB8_1330
.LBB8_587:                              ;   in Loop: Header=BB8_107 Depth=1
	s_or_b32 exec_lo, exec_lo, s30
	s_cbranch_execnz .LBB8_1304
; %bb.588:                              ;   in Loop: Header=BB8_107 Depth=1
	ds_load_b64 v[10:11], v0
	v_add_co_u32 v24, vcc_lo, v24, v54
	v_add_co_ci_u32_e32 v25, vcc_lo, 0, v25, vcc_lo
	s_mov_b32 s30, exec_lo
	s_waitcnt lgkmcnt(0)
	s_delay_alu instid0(VALU_DEP_1)
	v_cmpx_lt_u64_e64 v[10:11], v[24:25]
	s_cbranch_execz .LBB8_599
; %bb.589:                              ;   in Loop: Header=BB8_107 Depth=1
	s_mov_b32 s31, 0
	s_mov_b32 s36, 0
                                        ; implicit-def: $sgpr34
                                        ; implicit-def: $sgpr35
	s_branch .LBB8_591
.LBB8_590:                              ;   in Loop: Header=BB8_591 Depth=2
	s_or_b32 exec_lo, exec_lo, s38
	s_delay_alu instid0(SALU_CYCLE_1) | instskip(NEXT) | instid1(SALU_CYCLE_1)
	s_and_b32 vcc_lo, exec_lo, vcc_lo
	s_or_b32 s31, vcc_lo, s31
	s_and_not1_b32 vcc_lo, s34, exec_lo
	s_and_b32 s34, s35, exec_lo
	s_delay_alu instid0(SALU_CYCLE_1)
	s_or_b32 s34, vcc_lo, s34
	s_and_not1_b32 exec_lo, exec_lo, s31
	s_cbranch_execz .LBB8_597
.LBB8_591:                              ;   Parent Loop BB8_107 Depth=1
                                        ; =>  This Inner Loop Header: Depth=2
	s_add_i32 s36, s36, 1
                                        ; implicit-def: $sgpr38
	s_delay_alu instid0(SALU_CYCLE_1) | instskip(SKIP_1) | instid1(SALU_CYCLE_1)
	s_cmpk_lg_i32 s36, 0x2710
	s_cselect_b32 s37, -1, 0
	s_and_b32 vcc_lo, exec_lo, s37
	s_cbranch_vccz .LBB8_595
.LBB8_592:                              ;   in Loop: Header=BB8_591 Depth=2
	s_and_not1_b32 s35, s35, exec_lo
	s_and_b32 s38, s38, exec_lo
	s_mov_b32 vcc_lo, -1
	s_or_b32 s35, s35, s38
	s_and_saveexec_b32 s38, s37
	s_cbranch_execz .LBB8_590
; %bb.593:                              ;   in Loop: Header=BB8_591 Depth=2
	s_sleep 1
	s_cbranch_execnz .LBB8_1376
; %bb.594:                              ;   in Loop: Header=BB8_591 Depth=2
	ds_load_b64 v[10:11], v0
	s_and_not1_b32 s35, s35, exec_lo
	s_waitcnt lgkmcnt(0)
	v_cmp_ge_u64_e32 vcc_lo, v[10:11], v[24:25]
	s_or_not1_b32 vcc_lo, vcc_lo, exec_lo
	s_branch .LBB8_590
.LBB8_595:                              ;   in Loop: Header=BB8_591 Depth=2
	s_cbranch_execnz .LBB8_1392
; %bb.596:                              ;   in Loop: Header=BB8_591 Depth=2
	ds_load_b64 v[10:11], v0
	s_and_not1_b32 s37, s37, exec_lo
	s_mov_b32 s36, 0
	s_mov_b32 s38, -1
	s_waitcnt lgkmcnt(0)
	flat_load_b32 v1, v[10:11] glc
	s_waitcnt vmcnt(0) lgkmcnt(0)
	buffer_gl1_inv
	buffer_gl0_inv
	v_cmp_eq_u32_e32 vcc_lo, 0, v1
	s_and_b32 vcc_lo, vcc_lo, exec_lo
	s_delay_alu instid0(SALU_CYCLE_1)
	s_or_b32 s37, s37, vcc_lo
	s_branch .LBB8_592
.LBB8_597:                              ;   in Loop: Header=BB8_107 Depth=1
	s_or_b32 exec_lo, exec_lo, s31
	s_and_saveexec_b32 vcc_lo, s34
	s_delay_alu instid0(SALU_CYCLE_1)
	s_xor_b32 vcc_lo, exec_lo, vcc_lo
	s_cbranch_execz .LBB8_599
; %bb.598:                              ;   in Loop: Header=BB8_107 Depth=1
	ds_store_b32 v0, v97
	s_cbranch_execnz .LBB8_1555
.LBB8_599:                              ;   in Loop: Header=BB8_107 Depth=1
	s_or_b32 exec_lo, exec_lo, s30
	;;#ASMSTART
	s_wakeup
	;;#ASMEND
.LBB8_600:                              ;   in Loop: Header=BB8_107 Depth=1
	s_or_b32 exec_lo, exec_lo, vcc_hi
.LBB8_601:                              ;   in Loop: Header=BB8_107 Depth=1
	s_and_not1_saveexec_b32 s28, s28
	s_cbranch_execz .LBB8_603
; %bb.602:                              ;   in Loop: Header=BB8_107 Depth=1
	s_waitcnt lgkmcnt(0)
	s_waitcnt_vscnt null, 0x0
	buffer_gl1_inv
	buffer_gl0_inv
	s_barrier
.LBB8_603:                              ;   in Loop: Header=BB8_107 Depth=1
	s_or_b32 exec_lo, exec_lo, s28
.LBB8_604:                              ;   in Loop: Header=BB8_107 Depth=1
	s_delay_alu instid0(SALU_CYCLE_1) | instskip(SKIP_1) | instid1(SALU_CYCLE_1)
	s_or_b32 exec_lo, exec_lo, s16
	s_and_saveexec_b32 s16, s11
	s_xor_b32 s28, exec_lo, s16
	s_cbranch_execz .LBB8_609
; %bb.605:                              ;   in Loop: Header=BB8_107 Depth=1
	s_cbranch_execnz .LBB8_1254
; %bb.606:                              ;   in Loop: Header=BB8_107 Depth=1
	ds_load_b32 v1, v0
	v_sub_nc_u32_e32 v10, v39, v37
	s_delay_alu instid0(VALU_DEP_1) | instskip(NEXT) | instid1(VALU_DEP_1)
	v_min_i32_e32 v10, v36, v10
	v_cmp_lt_i32_e32 vcc_lo, 0, v10
	s_waitcnt lgkmcnt(0)
	v_readfirstlane_b32 s16, v1
	v_and_b32_e32 v1, 16, v48
	s_delay_alu instid0(VALU_DEP_2) | instskip(NEXT) | instid1(VALU_DEP_1)
	s_cmp_eq_u32 s16, 0
	v_cmp_ne_u32_e64 s16, 0, v1
	s_cselect_b32 vcc_hi, -1, 0
	s_delay_alu instid0(SALU_CYCLE_1)
	s_and_b32 vcc_lo, vcc_lo, vcc_hi
	s_delay_alu instid0(VALU_DEP_1) | instid1(SALU_CYCLE_1)
	s_and_b32 vcc_lo, s16, vcc_lo
	s_delay_alu instid0(SALU_CYCLE_1)
	s_and_saveexec_b32 s16, vcc_lo
	s_cbranch_execz .LBB8_608
; %bb.607:                              ;   in Loop: Header=BB8_107 Depth=1
	s_waitcnt_vscnt null, 0x0
	buffer_gl1_inv
	buffer_gl0_inv
.LBB8_608:                              ;   in Loop: Header=BB8_107 Depth=1
	s_or_b32 exec_lo, exec_lo, s16
.LBB8_609:                              ;   in Loop: Header=BB8_107 Depth=1
	s_and_not1_saveexec_b32 s16, s28
	s_cbranch_execz .LBB8_631
; %bb.610:                              ;   in Loop: Header=BB8_107 Depth=1
	s_and_saveexec_b32 s28, s4
	s_delay_alu instid0(SALU_CYCLE_1)
	s_xor_b32 s28, exec_lo, s28
	s_cbranch_execz .LBB8_628
; %bb.611:                              ;   in Loop: Header=BB8_107 Depth=1
	s_and_saveexec_b32 vcc_hi, s5
	s_cbranch_execz .LBB8_627
; %bb.612:                              ;   in Loop: Header=BB8_107 Depth=1
	s_mov_b32 s31, exec_lo
	s_mov_b32 s30, exec_lo
	v_mbcnt_lo_u32_b32 v1, s31, 0
	;;#ASMSTART
	s_waitcnt lgkmcnt(0) vmcnt(0)
	;;#ASMEND
	s_delay_alu instid0(VALU_DEP_1)
	v_cmpx_eq_u32_e32 0, v1
	s_cbranch_execz .LBB8_614
; %bb.613:                              ;   in Loop: Header=BB8_107 Depth=1
	s_bcnt1_i32_b32 vcc_lo, s31
	s_delay_alu instid0(SALU_CYCLE_1)
	v_mov_b32_e32 v1, vcc_lo
	ds_add_u64 v0, v[1:2]
	s_cbranch_execnz .LBB8_1348
.LBB8_614:                              ;   in Loop: Header=BB8_107 Depth=1
	s_or_b32 exec_lo, exec_lo, s30
	s_cbranch_execnz .LBB8_1328
; %bb.615:                              ;   in Loop: Header=BB8_107 Depth=1
	ds_load_b64 v[10:11], v0
	v_add_co_u32 v24, vcc_lo, v24, v54
	v_add_co_ci_u32_e32 v25, vcc_lo, 0, v25, vcc_lo
	s_mov_b32 s30, exec_lo
	s_waitcnt lgkmcnt(0)
	s_delay_alu instid0(VALU_DEP_1)
	v_cmpx_lt_u64_e64 v[10:11], v[24:25]
	s_cbranch_execz .LBB8_626
; %bb.616:                              ;   in Loop: Header=BB8_107 Depth=1
	s_mov_b32 s31, 0
	s_mov_b32 s36, 0
                                        ; implicit-def: $sgpr34
                                        ; implicit-def: $sgpr35
	s_branch .LBB8_618
.LBB8_617:                              ;   in Loop: Header=BB8_618 Depth=2
	s_or_b32 exec_lo, exec_lo, s38
	s_delay_alu instid0(SALU_CYCLE_1) | instskip(NEXT) | instid1(SALU_CYCLE_1)
	s_and_b32 vcc_lo, exec_lo, vcc_lo
	s_or_b32 s31, vcc_lo, s31
	s_and_not1_b32 vcc_lo, s34, exec_lo
	s_and_b32 s34, s35, exec_lo
	s_delay_alu instid0(SALU_CYCLE_1)
	s_or_b32 s34, vcc_lo, s34
	s_and_not1_b32 exec_lo, exec_lo, s31
	s_cbranch_execz .LBB8_624
.LBB8_618:                              ;   Parent Loop BB8_107 Depth=1
                                        ; =>  This Inner Loop Header: Depth=2
	s_add_i32 s36, s36, 1
                                        ; implicit-def: $sgpr38
	s_delay_alu instid0(SALU_CYCLE_1) | instskip(SKIP_1) | instid1(SALU_CYCLE_1)
	s_cmpk_lg_i32 s36, 0x2710
	s_cselect_b32 s37, -1, 0
	s_and_b32 vcc_lo, exec_lo, s37
	s_cbranch_vccz .LBB8_622
.LBB8_619:                              ;   in Loop: Header=BB8_618 Depth=2
	s_and_not1_b32 s35, s35, exec_lo
	s_and_b32 s38, s38, exec_lo
	s_mov_b32 vcc_lo, -1
	s_or_b32 s35, s35, s38
	s_and_saveexec_b32 s38, s37
	s_cbranch_execz .LBB8_617
; %bb.620:                              ;   in Loop: Header=BB8_618 Depth=2
	s_sleep 1
	s_cbranch_execnz .LBB8_1416
; %bb.621:                              ;   in Loop: Header=BB8_618 Depth=2
	ds_load_b64 v[10:11], v0
	s_and_not1_b32 s35, s35, exec_lo
	s_waitcnt lgkmcnt(0)
	v_cmp_ge_u64_e32 vcc_lo, v[10:11], v[24:25]
	s_or_not1_b32 vcc_lo, vcc_lo, exec_lo
	s_branch .LBB8_617
.LBB8_622:                              ;   in Loop: Header=BB8_618 Depth=2
	s_cbranch_execnz .LBB8_1449
; %bb.623:                              ;   in Loop: Header=BB8_618 Depth=2
	ds_load_b64 v[10:11], v0
	s_and_not1_b32 s37, s37, exec_lo
	s_mov_b32 s36, 0
	s_mov_b32 s38, -1
	s_waitcnt lgkmcnt(0)
	s_waitcnt_vscnt null, 0x0
	flat_load_b32 v1, v[10:11] glc
	s_waitcnt vmcnt(0) lgkmcnt(0)
	buffer_gl1_inv
	buffer_gl0_inv
	v_cmp_eq_u32_e32 vcc_lo, 0, v1
	s_and_b32 vcc_lo, vcc_lo, exec_lo
	s_delay_alu instid0(SALU_CYCLE_1)
	s_or_b32 s37, s37, vcc_lo
	s_branch .LBB8_619
.LBB8_624:                              ;   in Loop: Header=BB8_107 Depth=1
	s_or_b32 exec_lo, exec_lo, s31
	s_and_saveexec_b32 vcc_lo, s34
	s_delay_alu instid0(SALU_CYCLE_1)
	s_xor_b32 vcc_lo, exec_lo, vcc_lo
	s_cbranch_execz .LBB8_626
; %bb.625:                              ;   in Loop: Header=BB8_107 Depth=1
	ds_store_b32 v0, v97
	s_cbranch_execnz .LBB8_1569
.LBB8_626:                              ;   in Loop: Header=BB8_107 Depth=1
	s_or_b32 exec_lo, exec_lo, s30
	;;#ASMSTART
	s_wakeup
	;;#ASMEND
.LBB8_627:                              ;   in Loop: Header=BB8_107 Depth=1
	s_or_b32 exec_lo, exec_lo, vcc_hi
.LBB8_628:                              ;   in Loop: Header=BB8_107 Depth=1
	s_and_not1_saveexec_b32 s28, s28
	s_cbranch_execz .LBB8_630
; %bb.629:                              ;   in Loop: Header=BB8_107 Depth=1
	;;#ASMSTART
	s_waitcnt lgkmcnt(0) vmcnt(0)
	;;#ASMEND
	s_waitcnt lgkmcnt(0)
	s_waitcnt_vscnt null, 0x0
	s_barrier
.LBB8_630:                              ;   in Loop: Header=BB8_107 Depth=1
	s_or_b32 exec_lo, exec_lo, s28
.LBB8_631:                              ;   in Loop: Header=BB8_107 Depth=1
	s_delay_alu instid0(SALU_CYCLE_1) | instskip(SKIP_2) | instid1(VALU_DEP_1)
	s_or_b32 exec_lo, exec_lo, s16
	v_and_b32_e32 v1, 32, v48
	s_and_not1_b32 s16, s18, exec_lo
	v_cmp_ne_u32_e32 vcc_lo, 0, v1
	s_and_b32 s28, vcc_lo, exec_lo
	s_delay_alu instid0(SALU_CYCLE_1)
	s_or_b32 s16, s16, s28
.LBB8_632:                              ;   in Loop: Header=BB8_107 Depth=1
	s_or_b32 exec_lo, exec_lo, s17
	s_delay_alu instid0(SALU_CYCLE_1) | instskip(SKIP_1) | instid1(SALU_CYCLE_1)
	s_and_not1_b32 s17, s18, exec_lo
	s_and_b32 s16, s16, exec_lo
	s_or_b32 s18, s17, s16
.LBB8_633:                              ;   in Loop: Header=BB8_107 Depth=1
	s_or_b32 exec_lo, exec_lo, s19
	s_delay_alu instid0(SALU_CYCLE_1)
	s_and_b32 s28, s18, exec_lo
                                        ; implicit-def: $vgpr36
                                        ; implicit-def: $vgpr39
                                        ; implicit-def: $vgpr1
                                        ; implicit-def: $vgpr10
.LBB8_634:                              ;   in Loop: Header=BB8_107 Depth=1
	s_and_not1_saveexec_b32 s29, s29
	s_cbranch_execz .LBB8_1157
; %bb.635:                              ;   in Loop: Header=BB8_107 Depth=1
	s_mov_b32 s18, 0
	s_mov_b32 s17, s28
	s_and_saveexec_b32 s16, s26
	s_delay_alu instid0(SALU_CYCLE_1)
	s_xor_b32 vcc_hi, exec_lo, s16
	s_cbranch_execz .LBB8_915
; %bb.636:                              ;   in Loop: Header=BB8_107 Depth=1
	v_mov_b32_e32 v12, 0
	s_and_saveexec_b32 s17, s15
	s_cbranch_execz .LBB8_837
; %bb.637:                              ;   in Loop: Header=BB8_107 Depth=1
	s_and_saveexec_b32 s18, s0
	s_cbranch_execz .LBB8_640
; %bb.638:                              ;   in Loop: Header=BB8_107 Depth=1
	s_cbranch_execnz .LBB8_1173
; %bb.639:                              ;   in Loop: Header=BB8_107 Depth=1
	ds_load_2addr_b64 v[98:101], v0 offset1:1
	ds_load_b64 v[11:12], v0
	s_waitcnt lgkmcnt(1)
	v_add_co_u32 v37, vcc_lo, v98, v1
	v_add_co_ci_u32_e32 v38, vcc_lo, v99, v10, vcc_lo
	s_waitcnt lgkmcnt(0)
	v_add_co_u32 v13, vcc_lo, v11, v1
	v_add_co_ci_u32_e32 v98, vcc_lo, v12, v10, vcc_lo
	v_cmp_ne_u64_e32 vcc_lo, 0, v[11:12]
	v_add_co_u32 v11, s16, v100, v1
	s_delay_alu instid0(VALU_DEP_1) | instskip(NEXT) | instid1(VALU_DEP_4)
	v_add_co_ci_u32_e64 v12, s16, v101, v10, s16
	v_dual_cndmask_b32 v99, 0, v98 :: v_dual_cndmask_b32 v98, 0, v13
	ds_store_b64 v0, v[37:38]
	ds_store_b64 v0, v[11:12]
	;; [unrolled: 1-line block ×3, first 2 shown]
.LBB8_640:                              ;   in Loop: Header=BB8_107 Depth=1
	s_or_b32 exec_lo, exec_lo, s18
	v_and_b32_e32 v1, 8, v48
	s_mov_b32 s18, -1
	s_mov_b32 s16, exec_lo
	s_delay_alu instid0(VALU_DEP_1)
	v_cmpx_ne_u32_e32 0, v1
                                        ; implicit-def: $vgpr42 : SGPR spill to VGPR lane
	v_writelane_b32 v42, s17, 0
	s_cbranch_execz .LBB8_654
; %bb.641:                              ;   in Loop: Header=BB8_107 Depth=1
	v_add_co_u32 v12, vcc_lo, v28, 8
	v_add_co_ci_u32_e32 v13, vcc_lo, 0, v29, vcc_lo
	v_add_co_u32 v10, vcc_lo, v8, 1
	v_add_co_ci_u32_e32 v11, vcc_lo, 0, v9, vcc_lo
	v_mov_b32_e32 v1, 1
	s_mov_b32 s17, exec_lo
	s_delay_alu instid0(VALU_DEP_2)
	v_cmpx_lt_u64_e64 v[12:13], v[10:11]
	s_cbranch_execz .LBB8_653
; %bb.642:                              ;   in Loop: Header=BB8_107 Depth=1
	v_mov_b32_e32 v1, 0
	s_mov_b32 s18, 0
                                        ; implicit-def: $sgpr19
	s_branch .LBB8_646
.LBB8_643:                              ;   in Loop: Header=BB8_646 Depth=2
	s_or_b32 exec_lo, exec_lo, s35
	v_mov_b32_e32 v12, 0
	s_or_not1_b32 s34, s34, exec_lo
.LBB8_644:                              ;   in Loop: Header=BB8_646 Depth=2
	s_or_b32 exec_lo, exec_lo, s31
	s_delay_alu instid0(VALU_DEP_1) | instskip(SKIP_2) | instid1(SALU_CYCLE_1)
	v_mov_b32_e32 v1, v12
	s_and_not1_b32 s19, s19, exec_lo
	s_and_b32 vcc_lo, s34, exec_lo
	s_or_b32 s19, s19, vcc_lo
.LBB8_645:                              ;   in Loop: Header=BB8_646 Depth=2
	s_or_b32 exec_lo, exec_lo, s30
	s_waitcnt vmcnt(0) lgkmcnt(0)
	v_add_co_u32 v12, vcc_lo, v28, 8
	v_add_co_ci_u32_e32 v13, vcc_lo, 0, v29, vcc_lo
	s_xor_b32 s30, s19, -1
	s_delay_alu instid0(VALU_DEP_1) | instskip(SKIP_1) | instid1(SALU_CYCLE_1)
	v_cmp_ge_u64_e32 vcc_lo, v[12:13], v[10:11]
	s_or_b32 vcc_lo, s30, vcc_lo
	s_and_b32 vcc_lo, exec_lo, vcc_lo
	s_delay_alu instid0(SALU_CYCLE_1) | instskip(NEXT) | instid1(SALU_CYCLE_1)
	s_or_b32 s18, vcc_lo, s18
	s_and_not1_b32 exec_lo, exec_lo, s18
	s_cbranch_execz .LBB8_652
.LBB8_646:                              ;   Parent Loop BB8_107 Depth=1
                                        ; =>  This Inner Loop Header: Depth=2
	s_sleep 1
	flat_load_b64 v[28:29], v[20:21] glc
	v_and_b32_e32 v12, 64, v48
	s_and_not1_b32 s19, s19, exec_lo
	s_mov_b32 s30, exec_lo
	s_delay_alu instid0(VALU_DEP_1)
	v_cmpx_eq_u32_e32 0, v12
	s_cbranch_execz .LBB8_645
; %bb.647:                              ;   in Loop: Header=BB8_646 Depth=2
	v_add_nc_u32_e32 v12, 1, v1
	s_mov_b32 s34, -1
	s_mov_b32 s31, exec_lo
	v_cmpx_lt_i32_e32 0x270e, v1
	s_cbranch_execz .LBB8_644
; %bb.648:                              ;   in Loop: Header=BB8_646 Depth=2
	s_cbranch_execnz .LBB8_1225
; %bb.649:                              ;   in Loop: Header=BB8_646 Depth=2
	ds_load_b64 v[12:13], v0
	s_mov_b32 s35, exec_lo
	s_waitcnt vmcnt(0) lgkmcnt(0)
	s_waitcnt_vscnt null, 0x0
	flat_load_b32 v1, v[12:13] glc
	s_waitcnt vmcnt(0) lgkmcnt(0)
	buffer_gl1_inv
	buffer_gl0_inv
	v_cmpx_ne_u32_e32 0, v1
	s_cbranch_execz .LBB8_643
; %bb.650:                              ;   in Loop: Header=BB8_646 Depth=2
	ds_store_b32 v0, v1
	s_cbranch_execnz .LBB8_1268
; %bb.651:                              ;   in Loop: Header=BB8_646 Depth=2
	v_or_b32_e32 v48, 64, v48
	s_xor_b32 s34, exec_lo, -1
	s_branch .LBB8_643
.LBB8_652:                              ;   in Loop: Header=BB8_107 Depth=1
	s_or_b32 exec_lo, exec_lo, s18
	v_and_b32_e32 v1, 8, v48
.LBB8_653:                              ;   in Loop: Header=BB8_107 Depth=1
	s_or_b32 exec_lo, exec_lo, s17
	s_delay_alu instid0(VALU_DEP_1)
	v_cmp_eq_u32_e32 vcc_lo, 0, v1
	;;#ASMSTART
	s_wakeup
	;;#ASMEND
	s_or_not1_b32 s18, vcc_lo, exec_lo
.LBB8_654:                              ;   in Loop: Header=BB8_107 Depth=1
	s_or_b32 exec_lo, exec_lo, s16
	v_min_i32_e32 v36, v36, v39
	s_xor_b32 s16, s18, -1
	s_delay_alu instid0(SALU_CYCLE_1)
	s_and_saveexec_b32 s17, s16
	s_cbranch_execz .LBB8_664
; %bb.655:                              ;   in Loop: Header=BB8_107 Depth=1
	v_and_b32_e32 v1, 0x100, v48
	s_mov_b32 s16, -1
                                        ; implicit-def: $vgpr10_vgpr11
	s_delay_alu instid0(VALU_DEP_1)
	v_cmp_ne_u32_e32 vcc_lo, 0, v1
	v_and_b32_e32 v1, 7, v8
	s_and_saveexec_b32 s18, vcc_lo
	s_cbranch_execz .LBB8_659
; %bb.656:                              ;   in Loop: Header=BB8_107 Depth=1
	s_delay_alu instid0(VALU_DEP_1)
	v_mad_u64_u32 v[12:13], null, v1, 24, v[6:7]
	v_ashrrev_i32_e32 v37, 31, v36
	flat_load_b32 v10, v[12:13]
	flat_store_b64 v[12:13], v[36:37] offset:8
	s_waitcnt vmcnt(0) lgkmcnt(1)
	v_cmp_ne_u32_e32 vcc_lo, 1, v10
	v_cmp_eq_u32_e64 s16, 1, v10
                                        ; implicit-def: $vgpr10_vgpr11
	s_delay_alu instid0(VALU_DEP_1)
	s_and_saveexec_b32 s19, s16
	s_cbranch_execz .LBB8_658
; %bb.657:                              ;   in Loop: Header=BB8_107 Depth=1
	flat_load_b32 v10, v[12:13] offset:4 glc
	s_waitcnt vmcnt(0) lgkmcnt(0)
	v_ashrrev_i32_e32 v11, 31, v10
.LBB8_658:                              ;   in Loop: Header=BB8_107 Depth=1
	s_or_b32 exec_lo, exec_lo, s19
	s_delay_alu instid0(SALU_CYCLE_1)
	s_or_not1_b32 s16, vcc_lo, exec_lo
.LBB8_659:                              ;   in Loop: Header=BB8_107 Depth=1
	s_or_b32 exec_lo, exec_lo, s18
	s_and_saveexec_b32 s18, s16
; %bb.660:                              ;   in Loop: Header=BB8_107 Depth=1
	v_mad_i64_i32 v[10:11], null, v1, v49, 0
; %bb.661:                              ;   in Loop: Header=BB8_107 Depth=1
	s_or_b32 exec_lo, exec_lo, s18
	s_delay_alu instid0(VALU_DEP_1) | instskip(SKIP_1) | instid1(VALU_DEP_3)
	v_add_co_u32 v10, vcc_lo, v22, v10
	v_and_b32_e32 v1, 0x2000, v48
	v_add_co_ci_u32_e32 v11, vcc_lo, v23, v11, vcc_lo
	s_mov_b32 s16, exec_lo
	ds_store_b64 v0, v[10:11] offset:792
	v_cmpx_ne_u32_e32 0, v1
	s_cbranch_execz .LBB8_663
; %bb.662:                              ;   in Loop: Header=BB8_107 Depth=1
	ds_load_b64 v[10:11], v0 offset:584
	s_waitcnt lgkmcnt(0)
	v_add_co_u32 v10, vcc_lo, v10, 1
	v_add_co_ci_u32_e32 v11, vcc_lo, 0, v11, vcc_lo
	ds_store_b64 v0, v[10:11] offset:584
.LBB8_663:                              ;   in Loop: Header=BB8_107 Depth=1
	s_or_b32 exec_lo, exec_lo, s16
	v_add_co_u32 v8, vcc_lo, v8, 1
	v_add_co_ci_u32_e32 v9, vcc_lo, 0, v9, vcc_lo
.LBB8_664:                              ;   in Loop: Header=BB8_107 Depth=1
	s_or_b32 exec_lo, exec_lo, s17
	s_and_saveexec_b32 s16, s3
	s_cbranch_execz .LBB8_686
; %bb.665:                              ;   in Loop: Header=BB8_107 Depth=1
	s_and_saveexec_b32 s17, s4
	s_delay_alu instid0(SALU_CYCLE_1)
	s_xor_b32 s17, exec_lo, s17
	s_cbranch_execz .LBB8_683
; %bb.666:                              ;   in Loop: Header=BB8_107 Depth=1
	s_and_saveexec_b32 s18, s5
	s_cbranch_execz .LBB8_682
; %bb.667:                              ;   in Loop: Header=BB8_107 Depth=1
	s_mov_b32 s30, exec_lo
	s_mov_b32 s19, exec_lo
	v_mbcnt_lo_u32_b32 v1, s30, 0
	s_waitcnt lgkmcnt(0)
	s_waitcnt_vscnt null, 0x0
	buffer_gl1_inv
	buffer_gl0_inv
	v_cmpx_eq_u32_e32 0, v1
	s_cbranch_execz .LBB8_669
; %bb.668:                              ;   in Loop: Header=BB8_107 Depth=1
	s_bcnt1_i32_b32 vcc_lo, s30
	s_delay_alu instid0(SALU_CYCLE_1)
	v_mov_b32_e32 v1, vcc_lo
	ds_add_u64 v0, v[1:2]
	s_cbranch_execnz .LBB8_1302
.LBB8_669:                              ;   in Loop: Header=BB8_107 Depth=1
	s_or_b32 exec_lo, exec_lo, s19
	s_cbranch_execnz .LBB8_1282
; %bb.670:                              ;   in Loop: Header=BB8_107 Depth=1
	ds_load_b64 v[10:11], v0
	v_add_co_u32 v24, vcc_lo, v24, v54
	v_add_co_ci_u32_e32 v25, vcc_lo, 0, v25, vcc_lo
	s_mov_b32 s19, exec_lo
	s_waitcnt lgkmcnt(0)
	s_delay_alu instid0(VALU_DEP_1)
	v_cmpx_lt_u64_e64 v[10:11], v[24:25]
	s_cbranch_execz .LBB8_681
; %bb.671:                              ;   in Loop: Header=BB8_107 Depth=1
	s_mov_b32 s30, 0
	s_mov_b32 s35, 0
                                        ; implicit-def: $sgpr31
                                        ; implicit-def: $sgpr34
	s_branch .LBB8_673
.LBB8_672:                              ;   in Loop: Header=BB8_673 Depth=2
	s_or_b32 exec_lo, exec_lo, s37
	s_delay_alu instid0(SALU_CYCLE_1) | instskip(NEXT) | instid1(SALU_CYCLE_1)
	s_and_b32 vcc_lo, exec_lo, vcc_lo
	s_or_b32 s30, vcc_lo, s30
	s_and_not1_b32 vcc_lo, s31, exec_lo
	s_and_b32 s31, s34, exec_lo
	s_delay_alu instid0(SALU_CYCLE_1)
	s_or_b32 s31, vcc_lo, s31
	s_and_not1_b32 exec_lo, exec_lo, s30
	s_cbranch_execz .LBB8_679
.LBB8_673:                              ;   Parent Loop BB8_107 Depth=1
                                        ; =>  This Inner Loop Header: Depth=2
	s_add_i32 s35, s35, 1
                                        ; implicit-def: $sgpr37
	s_delay_alu instid0(SALU_CYCLE_1) | instskip(SKIP_1) | instid1(SALU_CYCLE_1)
	s_cmpk_lg_i32 s35, 0x2710
	s_cselect_b32 s36, -1, 0
	s_and_b32 vcc_lo, exec_lo, s36
	s_cbranch_vccz .LBB8_677
.LBB8_674:                              ;   in Loop: Header=BB8_673 Depth=2
	s_and_not1_b32 s34, s34, exec_lo
	s_and_b32 s37, s37, exec_lo
	s_mov_b32 vcc_lo, -1
	s_or_b32 s34, s34, s37
	s_and_saveexec_b32 s37, s36
	s_cbranch_execz .LBB8_672
; %bb.675:                              ;   in Loop: Header=BB8_673 Depth=2
	s_sleep 1
	s_cbranch_execnz .LBB8_1354
; %bb.676:                              ;   in Loop: Header=BB8_673 Depth=2
	ds_load_b64 v[10:11], v0
	s_and_not1_b32 s34, s34, exec_lo
	s_waitcnt lgkmcnt(0)
	v_cmp_ge_u64_e32 vcc_lo, v[10:11], v[24:25]
	s_or_not1_b32 vcc_lo, vcc_lo, exec_lo
	s_branch .LBB8_672
.LBB8_677:                              ;   in Loop: Header=BB8_673 Depth=2
	s_cbranch_execnz .LBB8_1362
; %bb.678:                              ;   in Loop: Header=BB8_673 Depth=2
	ds_load_b64 v[10:11], v0
	s_and_not1_b32 s36, s36, exec_lo
	s_mov_b32 s35, 0
	s_mov_b32 s37, -1
	s_waitcnt lgkmcnt(0)
	flat_load_b32 v1, v[10:11] glc
	s_waitcnt vmcnt(0) lgkmcnt(0)
	buffer_gl1_inv
	buffer_gl0_inv
	v_cmp_eq_u32_e32 vcc_lo, 0, v1
	s_and_b32 vcc_lo, vcc_lo, exec_lo
	s_delay_alu instid0(SALU_CYCLE_1)
	s_or_b32 s36, s36, vcc_lo
	s_branch .LBB8_674
.LBB8_679:                              ;   in Loop: Header=BB8_107 Depth=1
	s_or_b32 exec_lo, exec_lo, s30
	s_and_saveexec_b32 vcc_lo, s31
	s_delay_alu instid0(SALU_CYCLE_1)
	s_xor_b32 vcc_lo, exec_lo, vcc_lo
	s_cbranch_execz .LBB8_681
; %bb.680:                              ;   in Loop: Header=BB8_107 Depth=1
	ds_store_b32 v0, v97
	s_cbranch_execnz .LBB8_1545
.LBB8_681:                              ;   in Loop: Header=BB8_107 Depth=1
	s_or_b32 exec_lo, exec_lo, s19
	;;#ASMSTART
	s_wakeup
	;;#ASMEND
.LBB8_682:                              ;   in Loop: Header=BB8_107 Depth=1
	s_or_b32 exec_lo, exec_lo, s18
.LBB8_683:                              ;   in Loop: Header=BB8_107 Depth=1
	s_and_not1_saveexec_b32 s17, s17
	s_cbranch_execz .LBB8_685
; %bb.684:                              ;   in Loop: Header=BB8_107 Depth=1
	s_waitcnt lgkmcnt(0)
	s_waitcnt_vscnt null, 0x0
	buffer_gl1_inv
	buffer_gl0_inv
	s_barrier
.LBB8_685:                              ;   in Loop: Header=BB8_107 Depth=1
	s_or_b32 exec_lo, exec_lo, s17
.LBB8_686:                              ;   in Loop: Header=BB8_107 Depth=1
	s_delay_alu instid0(SALU_CYCLE_1)
	s_or_b32 exec_lo, exec_lo, s16
	s_cbranch_execnz .LBB8_1171
; %bb.687:                              ;   in Loop: Header=BB8_107 Depth=1
	ds_load_b32 v10, v0
	v_and_b32_e32 v1, 0x4000, v48
	s_delay_alu instid0(VALU_DEP_1) | instskip(SKIP_1) | instid1(SALU_CYCLE_1)
	v_cmp_ne_u32_e32 vcc_lo, 0, v1
	s_and_b32 s17, s27, vcc_lo
	s_and_saveexec_b32 s16, s17
	s_cbranch_execz .LBB8_709
; %bb.688:                              ;   in Loop: Header=BB8_107 Depth=1
	s_and_saveexec_b32 s17, s4
	s_delay_alu instid0(SALU_CYCLE_1)
	s_xor_b32 s17, exec_lo, s17
	s_cbranch_execz .LBB8_706
; %bb.689:                              ;   in Loop: Header=BB8_107 Depth=1
	s_and_saveexec_b32 s18, s5
	s_cbranch_execz .LBB8_705
; %bb.690:                              ;   in Loop: Header=BB8_107 Depth=1
	s_mov_b32 s30, exec_lo
	s_mov_b32 s19, exec_lo
	v_mbcnt_lo_u32_b32 v1, s30, 0
	s_waitcnt lgkmcnt(0)
	s_waitcnt_vscnt null, 0x0
	buffer_gl1_inv
	buffer_gl0_inv
	v_cmpx_eq_u32_e32 0, v1
	s_cbranch_execz .LBB8_692
; %bb.691:                              ;   in Loop: Header=BB8_107 Depth=1
	s_bcnt1_i32_b32 vcc_lo, s30
	s_delay_alu instid0(SALU_CYCLE_1)
	v_mov_b32_e32 v1, vcc_lo
	ds_add_u64 v0, v[1:2]
	s_cbranch_execnz .LBB8_1346
.LBB8_692:                              ;   in Loop: Header=BB8_107 Depth=1
	s_or_b32 exec_lo, exec_lo, s19
	s_cbranch_execnz .LBB8_1326
; %bb.693:                              ;   in Loop: Header=BB8_107 Depth=1
	ds_load_b64 v[11:12], v0
	v_add_co_u32 v24, vcc_lo, v24, v54
	v_add_co_ci_u32_e32 v25, vcc_lo, 0, v25, vcc_lo
	s_mov_b32 s19, exec_lo
	s_waitcnt lgkmcnt(0)
	s_delay_alu instid0(VALU_DEP_1)
	v_cmpx_lt_u64_e64 v[11:12], v[24:25]
	s_cbranch_execz .LBB8_704
; %bb.694:                              ;   in Loop: Header=BB8_107 Depth=1
	s_mov_b32 s30, 0
	s_mov_b32 s35, 0
                                        ; implicit-def: $sgpr31
                                        ; implicit-def: $sgpr34
	s_branch .LBB8_696
.LBB8_695:                              ;   in Loop: Header=BB8_696 Depth=2
	s_or_b32 exec_lo, exec_lo, s37
	s_delay_alu instid0(SALU_CYCLE_1) | instskip(NEXT) | instid1(SALU_CYCLE_1)
	s_and_b32 vcc_lo, exec_lo, vcc_lo
	s_or_b32 s30, vcc_lo, s30
	s_and_not1_b32 vcc_lo, s31, exec_lo
	s_and_b32 s31, s34, exec_lo
	s_delay_alu instid0(SALU_CYCLE_1)
	s_or_b32 s31, vcc_lo, s31
	s_and_not1_b32 exec_lo, exec_lo, s30
	s_cbranch_execz .LBB8_702
.LBB8_696:                              ;   Parent Loop BB8_107 Depth=1
                                        ; =>  This Inner Loop Header: Depth=2
	s_add_i32 s35, s35, 1
                                        ; implicit-def: $sgpr37
	s_delay_alu instid0(SALU_CYCLE_1) | instskip(SKIP_1) | instid1(SALU_CYCLE_1)
	s_cmpk_lg_i32 s35, 0x2710
	s_cselect_b32 s36, -1, 0
	s_and_b32 vcc_lo, exec_lo, s36
	s_cbranch_vccz .LBB8_700
.LBB8_697:                              ;   in Loop: Header=BB8_696 Depth=2
	s_and_not1_b32 s34, s34, exec_lo
	s_and_b32 s37, s37, exec_lo
	s_mov_b32 vcc_lo, -1
	s_or_b32 s34, s34, s37
	s_and_saveexec_b32 s37, s36
	s_cbranch_execz .LBB8_695
; %bb.698:                              ;   in Loop: Header=BB8_696 Depth=2
	s_sleep 1
	s_cbranch_execnz .LBB8_1414
; %bb.699:                              ;   in Loop: Header=BB8_696 Depth=2
	ds_load_b64 v[11:12], v0
	s_and_not1_b32 s34, s34, exec_lo
	s_waitcnt lgkmcnt(0)
	v_cmp_ge_u64_e32 vcc_lo, v[11:12], v[24:25]
	s_or_not1_b32 vcc_lo, vcc_lo, exec_lo
	s_branch .LBB8_695
.LBB8_700:                              ;   in Loop: Header=BB8_696 Depth=2
	s_cbranch_execnz .LBB8_1447
; %bb.701:                              ;   in Loop: Header=BB8_696 Depth=2
	ds_load_b64 v[11:12], v0
	s_and_not1_b32 s36, s36, exec_lo
	s_mov_b32 s35, 0
	s_mov_b32 s37, -1
	s_waitcnt lgkmcnt(0)
	flat_load_b32 v1, v[11:12] glc
	s_waitcnt vmcnt(0) lgkmcnt(0)
	buffer_gl1_inv
	buffer_gl0_inv
	v_cmp_eq_u32_e32 vcc_lo, 0, v1
	s_and_b32 vcc_lo, vcc_lo, exec_lo
	s_delay_alu instid0(SALU_CYCLE_1)
	s_or_b32 s36, s36, vcc_lo
	s_branch .LBB8_697
.LBB8_702:                              ;   in Loop: Header=BB8_107 Depth=1
	s_or_b32 exec_lo, exec_lo, s30
	s_and_saveexec_b32 vcc_lo, s31
	s_delay_alu instid0(SALU_CYCLE_1)
	s_xor_b32 vcc_lo, exec_lo, vcc_lo
	s_cbranch_execz .LBB8_704
; %bb.703:                              ;   in Loop: Header=BB8_107 Depth=1
	ds_store_b32 v0, v97
	s_cbranch_execnz .LBB8_1567
.LBB8_704:                              ;   in Loop: Header=BB8_107 Depth=1
	s_or_b32 exec_lo, exec_lo, s19
	;;#ASMSTART
	s_wakeup
	;;#ASMEND
.LBB8_705:                              ;   in Loop: Header=BB8_107 Depth=1
	s_or_b32 exec_lo, exec_lo, s18
.LBB8_706:                              ;   in Loop: Header=BB8_107 Depth=1
	s_and_not1_saveexec_b32 s17, s17
	s_cbranch_execz .LBB8_708
; %bb.707:                              ;   in Loop: Header=BB8_107 Depth=1
	s_waitcnt lgkmcnt(0)
	s_waitcnt_vscnt null, 0x0
	buffer_gl1_inv
	buffer_gl0_inv
	s_barrier
.LBB8_708:                              ;   in Loop: Header=BB8_107 Depth=1
	s_or_b32 exec_lo, exec_lo, s17
.LBB8_709:                              ;   in Loop: Header=BB8_107 Depth=1
	s_delay_alu instid0(SALU_CYCLE_1)
	s_or_b32 exec_lo, exec_lo, s16
	s_cbranch_execnz .LBB8_1231
; %bb.710:                              ;   in Loop: Header=BB8_107 Depth=1
	ds_load_b64 v[11:12], v0
	s_waitcnt lgkmcnt(0)
	v_cmp_eq_u64_e32 vcc_lo, 0, v[11:12]
	s_or_b32 s16, vcc_lo, vcc_lo
	s_delay_alu instid0(SALU_CYCLE_1)
	s_and_b32 vcc_lo, exec_lo, s16
	s_mov_b32 s16, 0
	s_cbranch_vccnz .LBB8_784
; %bb.711:                              ;   in Loop: Header=BB8_107 Depth=1
	v_cmp_eq_u32_e32 vcc_lo, 0, v10
	s_cbranch_execnz .LBB8_1276
; %bb.712:                              ;   in Loop: Header=BB8_107 Depth=1
	ds_load_b64 v[10:11], v0
	v_cndmask_b32_e32 v1, 0, v36, vcc_lo
	s_waitcnt lgkmcnt(0)
	v_cmp_ne_u64_e64 s16, 0, v[10:11]
	s_delay_alu instid0(VALU_DEP_1)
	s_and_b32 vcc_lo, exec_lo, s16
	s_cbranch_vccz .LBB8_749
; %bb.713:                              ;   in Loop: Header=BB8_107 Depth=1
	s_mov_b32 s16, -1
	s_and_saveexec_b32 s17, s10
	s_cbranch_execz .LBB8_715
; %bb.714:                              ;   in Loop: Header=BB8_107 Depth=1
	ds_load_b32 v10, v0 offset:720
	s_waitcnt lgkmcnt(0)
	v_and_b32_e32 v10, 15, v10
	s_delay_alu instid0(VALU_DEP_1)
	v_cmp_eq_u32_e32 vcc_lo, 0, v10
	s_or_not1_b32 s16, vcc_lo, exec_lo
.LBB8_715:                              ;   in Loop: Header=BB8_107 Depth=1
	s_or_b32 exec_lo, exec_lo, s17
	s_and_saveexec_b32 s17, s7
	s_cbranch_execz .LBB8_717
; %bb.716:                              ;   in Loop: Header=BB8_107 Depth=1
	ds_load_b32 v10, v0 offset:784
	s_waitcnt lgkmcnt(0)
	v_and_b32_e32 v10, 15, v10
	s_delay_alu instid0(VALU_DEP_1) | instskip(SKIP_3) | instid1(SALU_CYCLE_1)
	v_cmp_eq_u32_e32 vcc_lo, 0, v10
	s_and_b32 s18, s16, vcc_lo
	s_and_not1_b32 s16, s16, exec_lo
	s_and_b32 s18, s18, exec_lo
	s_or_b32 s16, s16, s18
.LBB8_717:                              ;   in Loop: Header=BB8_107 Depth=1
	s_or_b32 exec_lo, exec_lo, s17
	s_xor_b32 s16, s16, -1
	v_dual_mov_b32 v98, 0 :: v_dual_mov_b32 v99, v1
	v_cndmask_b32_e64 v10, 0, 1, s16
	;;#ASMSTART
	;;#ASMEND
	s_delay_alu instid0(VALU_DEP_1)
	v_cmp_ne_u32_e32 vcc_lo, 0, v10
	v_mov_b32_e32 v100, v0
	v_mov_b32_e32 v10, v51
	s_mov_b32 s16, -1
	s_cbranch_vccnz .LBB8_735
; %bb.718:                              ;   in Loop: Header=BB8_107 Depth=1
	v_ashrrev_i32_e32 v10, 31, v1
	s_mov_b32 s17, exec_lo
	s_delay_alu instid0(VALU_DEP_1) | instskip(NEXT) | instid1(VALU_DEP_1)
	v_lshrrev_b32_e32 v10, 22, v10
	v_add_nc_u32_e32 v10, v1, v10
	s_delay_alu instid0(VALU_DEP_1) | instskip(NEXT) | instid1(VALU_DEP_1)
	v_ashrrev_i32_e32 v98, 10, v10
	v_sub_nc_u32_e32 v102, v98, v51
	s_delay_alu instid0(VALU_DEP_1)
	v_cmpx_lt_i32_e32 0, v102
	s_cbranch_execz .LBB8_723
; %bb.719:                              ;   in Loop: Header=BB8_107 Depth=1
	s_cbranch_execnz .LBB8_1479
; %bb.720:                              ;   in Loop: Header=BB8_107 Depth=1
	ds_load_b64 v[10:11], v0
	ds_load_b128 v[112:115], v0
	s_mov_b32 s18, 0
	s_waitcnt lgkmcnt(1)
	v_add_co_u32 v10, vcc_lo, v10, v55
	v_add_co_ci_u32_e32 v11, vcc_lo, v11, v65, vcc_lo
	s_waitcnt lgkmcnt(0)
	v_add_co_u32 v12, vcc_lo, v112, v55
	v_add_co_ci_u32_e32 v13, vcc_lo, v113, v65, vcc_lo
	v_add_co_u32 v37, vcc_lo, v114, v55
	v_add_co_ci_u32_e32 v38, vcc_lo, v115, v65, vcc_lo
.LBB8_721:                              ;   Parent Loop BB8_107 Depth=1
                                        ; =>  This Inner Loop Header: Depth=2
	s_clause 0x1
	global_load_b128 v[112:115], v[10:11], off slc dlc
	global_load_b128 v[116:119], v[10:11], off offset:512 slc dlc
	v_sub_nc_u32_e32 v102, v102, v54
	v_add_co_u32 v10, vcc_lo, v10, v68
	v_add_co_ci_u32_e32 v11, vcc_lo, v11, v69, vcc_lo
	s_delay_alu instid0(VALU_DEP_3)
	v_cmp_gt_i32_e32 vcc_lo, 1, v102
	s_waitcnt vmcnt(1)
	global_store_b128 v[12:13], v[112:115], off glc slc dlc
	s_waitcnt vmcnt(0)
	global_store_b128 v[12:13], v[116:119], off offset:512 glc slc dlc
	s_clause 0x1
	global_store_b128 v[37:38], v[112:115], off glc slc dlc
	global_store_b128 v[37:38], v[116:119], off offset:512 glc slc dlc
	v_add_co_u32 v12, s16, v12, v68
	s_delay_alu instid0(VALU_DEP_1) | instskip(SKIP_1) | instid1(VALU_DEP_1)
	v_add_co_ci_u32_e64 v13, s16, v13, v69, s16
	v_add_co_u32 v37, s16, v37, v68
	v_add_co_ci_u32_e64 v38, s16, v38, v69, s16
	s_or_b32 s18, vcc_lo, s18
	s_delay_alu instid0(SALU_CYCLE_1)
	s_and_not1_b32 exec_lo, exec_lo, s18
	s_cbranch_execnz .LBB8_721
; %bb.722:                              ;   in Loop: Header=BB8_107 Depth=1
	s_or_b32 exec_lo, exec_lo, s18
.LBB8_723:                              ;   in Loop: Header=BB8_107 Depth=1
	s_delay_alu instid0(SALU_CYCLE_1) | instskip(SKIP_3) | instid1(VALU_DEP_1)
	s_or_b32 exec_lo, exec_lo, s17
	v_dual_mov_b32 v98, 0 :: v_dual_lshlrev_b32 v101, 10, v98
	s_mov_b32 s16, 0
	s_mov_b32 s30, exec_lo
                                        ; implicit-def: $vgpr99
                                        ; implicit-def: $vgpr100
                                        ; implicit-def: $vgpr10
	v_cmpx_ne_u32_e64 v1, v101
	s_cbranch_execz .LBB8_734
; %bb.724:                              ;   in Loop: Header=BB8_107 Depth=1
	v_lshlrev_b32_e32 v10, 5, v102
	v_sub_nc_u32_e32 v12, v1, v101
	s_mov_b32 s31, exec_lo
	s_delay_alu instid0(VALU_DEP_2) | instskip(NEXT) | instid1(VALU_DEP_2)
	v_sub_nc_u32_e32 v10, v53, v10
	v_ashrrev_i32_e32 v13, 31, v12
	s_delay_alu instid0(VALU_DEP_2) | instskip(NEXT) | instid1(VALU_DEP_2)
	v_ashrrev_i32_e32 v11, 31, v10
	v_lshrrev_b32_e32 v13, 23, v13
	s_delay_alu instid0(VALU_DEP_2) | instskip(NEXT) | instid1(VALU_DEP_2)
	v_lshrrev_b32_e32 v11, 27, v11
	v_add_nc_u32_e32 v13, v12, v13
	s_delay_alu instid0(VALU_DEP_2) | instskip(NEXT) | instid1(VALU_DEP_2)
	v_add_nc_u32_e32 v11, v10, v11
	v_and_b32_e32 v102, 0xfffffe00, v13
	v_ashrrev_i32_e32 v13, 9, v13
	s_delay_alu instid0(VALU_DEP_3) | instskip(NEXT) | instid1(VALU_DEP_3)
	v_and_b32_e32 v37, 0xffffffe0, v11
	v_sub_nc_u32_e32 v112, v12, v102
	v_ashrrev_i32_e32 v11, 5, v11
	s_delay_alu instid0(VALU_DEP_3) | instskip(NEXT) | instid1(VALU_DEP_3)
	v_sub_nc_u32_e32 v103, v10, v37
	v_cmp_lt_i32_e64 s16, 15, v112
	s_delay_alu instid0(VALU_DEP_2) | instskip(NEXT) | instid1(VALU_DEP_2)
	v_lshlrev_b32_e32 v10, 4, v103
	v_add_co_ci_u32_e64 v13, vcc_lo, 0, v13, s16
	s_delay_alu instid0(VALU_DEP_2) | instskip(NEXT) | instid1(VALU_DEP_2)
	v_lshl_add_u32 v10, v11, 9, v10
	v_sub_nc_u32_e32 v113, v13, v11
	s_delay_alu instid0(VALU_DEP_2) | instskip(NEXT) | instid1(VALU_DEP_1)
	v_sub_nc_u32_e32 v98, v12, v10
	v_cmpx_lt_i32_e32 15, v98
	s_cbranch_execz .LBB8_731
; %bb.725:                              ;   in Loop: Header=BB8_107 Depth=1
	s_cbranch_execnz .LBB8_1531
; %bb.726:                              ;   in Loop: Header=BB8_107 Depth=1
	ds_load_b64 v[11:12], v0
	ds_load_b128 v[114:117], v0
	v_add_nc_u32_e32 v10, v10, v101
	s_mov_b32 s34, 0
	s_delay_alu instid0(VALU_DEP_1) | instskip(SKIP_2) | instid1(VALU_DEP_2)
	v_ashrrev_i32_e32 v13, 31, v10
	s_waitcnt lgkmcnt(1)
	v_add_co_u32 v37, vcc_lo, v11, v10
	v_add_co_ci_u32_e32 v38, vcc_lo, v12, v13, vcc_lo
	s_waitcnt lgkmcnt(0)
	v_add_co_u32 v99, vcc_lo, v114, v10
	v_add_co_ci_u32_e32 v100, vcc_lo, v115, v13, vcc_lo
	v_add_co_u32 v114, vcc_lo, v116, v10
	v_add_co_ci_u32_e32 v115, vcc_lo, v117, v13, vcc_lo
.LBB8_727:                              ;   Parent Loop BB8_107 Depth=1
                                        ; =>  This Loop Header: Depth=2
                                        ;       Child Loop BB8_728 Depth 3
	global_load_b128 v[10:13], v[37:38], off slc dlc
	s_mov_b64 s[18:19], 0
	s_mov_b32 s17, -1
.LBB8_728:                              ;   Parent Loop BB8_107 Depth=1
                                        ;     Parent Loop BB8_727 Depth=2
                                        ; =>    This Inner Loop Header: Depth=3
	s_cmp_eq_u32 s18, 0
	v_cndmask_b32_e64 v118, 0, 1, s17
	s_cselect_b32 vcc_lo, -1, 0
	s_cmp_eq_u32 s18, 1
	s_cselect_b32 s17, -1, 0
	s_delay_alu instid0(SALU_CYCLE_1) | instskip(SKIP_1) | instid1(VALU_DEP_2)
	v_cndmask_b32_e64 v116, v99, v114, s17
	v_cndmask_b32_e64 v117, v100, v115, s17
	v_add_co_u32 v119, s18, 0x200, v116
	s_delay_alu instid0(VALU_DEP_1) | instskip(SKIP_1) | instid1(VALU_DEP_3)
	v_add_co_ci_u32_e64 v128, s18, 0, v117, s18
	v_cmp_ne_u32_e64 s18, 1, v118
	v_cndmask_b32_e64 v114, v114, v119, s17
	v_cndmask_b32_e32 v99, v99, v119, vcc_lo
	s_delay_alu instid0(VALU_DEP_4)
	v_cndmask_b32_e64 v115, v115, v128, s17
	v_cndmask_b32_e32 v100, v100, v128, vcc_lo
	s_mov_b32 s17, 0
	s_and_b32 vcc_lo, exec_lo, s18
	s_mov_b64 s[18:19], 1
	s_waitcnt vmcnt(0)
	global_store_b128 v[116:117], v[10:13], off glc slc dlc
	s_cbranch_vccz .LBB8_728
; %bb.729:                              ;   in Loop: Header=BB8_727 Depth=2
	v_add_co_u32 v99, vcc_lo, v99, v66
	v_sub_nc_u32_e32 v98, v98, v64
	v_add_co_ci_u32_e32 v100, vcc_lo, v100, v70, vcc_lo
	v_add_co_u32 v114, vcc_lo, v114, v66
	v_add_co_ci_u32_e32 v115, vcc_lo, v115, v70, vcc_lo
	s_delay_alu instid0(VALU_DEP_4) | instskip(SKIP_1) | instid1(VALU_DEP_1)
	v_cmp_gt_i32_e32 vcc_lo, 16, v98
	v_add_co_u32 v37, s17, v80, v37
	v_add_co_ci_u32_e64 v38, s17, v81, v38, s17
	v_sub_nc_u32_e32 v113, v113, v54
	s_or_b32 s34, vcc_lo, s34
	s_delay_alu instid0(SALU_CYCLE_1)
	s_and_not1_b32 exec_lo, exec_lo, s34
	s_cbranch_execnz .LBB8_727
; %bb.730:                              ;   in Loop: Header=BB8_107 Depth=1
	s_or_b32 exec_lo, exec_lo, s34
.LBB8_731:                              ;   in Loop: Header=BB8_107 Depth=1
	s_delay_alu instid0(SALU_CYCLE_1) | instskip(SKIP_3) | instid1(VALU_DEP_1)
	s_or_b32 exec_lo, exec_lo, s31
	v_dual_mov_b32 v98, 0 :: v_dual_and_b32 v11, 15, v1
	s_mov_b32 s17, 0
	s_mov_b32 s18, exec_lo
                                        ; implicit-def: $vgpr100
                                        ; implicit-def: $vgpr10
	v_cndmask_b32_e64 v99, v112, v11, s16
	s_delay_alu instid0(VALU_DEP_1)
	v_cmpx_ne_u32_e32 0, v99
	s_cbranch_execz .LBB8_733
; %bb.732:                              ;   in Loop: Header=BB8_107 Depth=1
	v_cmp_lt_i32_e32 vcc_lo, 0, v113
	v_sub_nc_u32_e32 v11, v112, v11
	s_mov_b32 s17, exec_lo
	v_cndmask_b32_e32 v10, 0, v54, vcc_lo
	s_delay_alu instid0(VALU_DEP_2) | instskip(NEXT) | instid1(VALU_DEP_2)
	v_cndmask_b32_e64 v11, 0, v11, s16
	v_sub_nc_u32_e32 v10, v10, v113
	s_delay_alu instid0(VALU_DEP_2) | instskip(NEXT) | instid1(VALU_DEP_2)
	v_add3_u32 v98, v102, v101, v11
	v_lshl_add_u32 v100, v10, 5, v103
	s_delay_alu instid0(VALU_DEP_1) | instskip(NEXT) | instid1(VALU_DEP_1)
	v_ashrrev_i32_e32 v10, 31, v100
	v_lshrrev_b32_e32 v10, 27, v10
	s_delay_alu instid0(VALU_DEP_1) | instskip(NEXT) | instid1(VALU_DEP_1)
	v_add_nc_u32_e32 v10, v100, v10
	v_ashrrev_i32_e32 v10, 5, v10
.LBB8_733:                              ;   in Loop: Header=BB8_107 Depth=1
	s_or_b32 exec_lo, exec_lo, s18
	s_delay_alu instid0(SALU_CYCLE_1)
	s_and_b32 s16, s17, exec_lo
.LBB8_734:                              ;   in Loop: Header=BB8_107 Depth=1
	s_or_b32 exec_lo, exec_lo, s30
.LBB8_735:                              ;   in Loop: Header=BB8_107 Depth=1
	s_and_saveexec_b32 s30, s16
	s_cbranch_execz .LBB8_748
; %bb.736:                              ;   in Loop: Header=BB8_107 Depth=1
	v_ashrrev_i32_e32 v11, 31, v99
	s_mov_b32 s17, exec_lo
	s_delay_alu instid0(VALU_DEP_1) | instskip(NEXT) | instid1(VALU_DEP_1)
	v_lshrrev_b32_e32 v11, 23, v11
	v_add_nc_u32_e32 v11, v99, v11
	s_delay_alu instid0(VALU_DEP_1) | instskip(NEXT) | instid1(VALU_DEP_1)
	v_ashrrev_i32_e32 v102, 9, v11
	v_sub_nc_u32_e32 v101, v102, v10
	s_delay_alu instid0(VALU_DEP_1)
	v_cmpx_lt_i32_e32 0, v101
	s_cbranch_execz .LBB8_741
; %bb.737:                              ;   in Loop: Header=BB8_107 Depth=1
	s_cbranch_execnz .LBB8_1469
; %bb.738:                              ;   in Loop: Header=BB8_107 Depth=1
	v_ashrrev_i32_e32 v11, 31, v100
	v_lshlrev_b32_e32 v10, 9, v10
	s_mov_b32 s18, 0
	ds_load_b128 v[112:115], v0
	v_lshrrev_b32_e32 v11, 27, v11
	s_delay_alu instid0(VALU_DEP_1) | instskip(SKIP_2) | instid1(VALU_DEP_1)
	v_add_nc_u32_e32 v13, v100, v11
	ds_load_b64 v[11:12], v0
	v_and_b32_e32 v13, 0xffffffe0, v13
	v_sub_nc_u32_e32 v13, v100, v13
	s_delay_alu instid0(VALU_DEP_1) | instskip(NEXT) | instid1(VALU_DEP_1)
	v_add3_u32 v37, v98, v13, v10
	v_ashrrev_i32_e32 v38, 31, v37
	s_waitcnt lgkmcnt(0)
	v_add_co_u32 v103, vcc_lo, 0x1e0, v11
	v_add_co_ci_u32_e32 v116, vcc_lo, 0, v12, vcc_lo
	v_add_co_u32 v10, vcc_lo, v112, v37
	v_add_co_ci_u32_e32 v11, vcc_lo, v113, v38, vcc_lo
	;; [unrolled: 2-line block ×4, first 2 shown]
.LBB8_739:                              ;   Parent Loop BB8_107 Depth=1
                                        ; =>  This Inner Loop Header: Depth=2
	s_delay_alu instid0(VALU_DEP_2) | instskip(NEXT) | instid1(VALU_DEP_2)
	v_add_co_u32 v112, vcc_lo, 0xfffffe20, v37
	v_add_co_ci_u32_e32 v113, vcc_lo, -1, v38, vcc_lo
	v_add_co_u32 v114, vcc_lo, 0xfffffe40, v37
	v_add_co_ci_u32_e32 v115, vcc_lo, -1, v38, vcc_lo
	;; [unrolled: 2-line block ×15, first 2 shown]
	flat_load_u8 v103, v[37:38] slc dlc
	flat_load_u8 v112, v[112:113] slc dlc
	;; [unrolled: 1-line block ×16, first 2 shown]
	v_sub_nc_u32_e32 v101, v101, v54
	v_add_co_u32 v37, vcc_lo, v37, v80
	v_add_co_ci_u32_e32 v38, vcc_lo, v38, v81, vcc_lo
	s_delay_alu instid0(VALU_DEP_3)
	v_cmp_gt_i32_e32 vcc_lo, 1, v101
	s_waitcnt vmcnt(14) lgkmcnt(14)
	flat_store_b8 v[10:11], v112 glc slc dlc
	s_waitcnt vmcnt(13) lgkmcnt(14)
	flat_store_b8 v[10:11], v113 offset:32 glc slc dlc
	s_waitcnt vmcnt(12) lgkmcnt(14)
	flat_store_b8 v[10:11], v114 offset:64 glc slc dlc
	;; [unrolled: 2-line block ×13, first 2 shown]
	s_waitcnt vmcnt(0) lgkmcnt(14)
	s_clause 0x1
	flat_store_b8 v[10:11], v134 offset:448 glc slc dlc
	flat_store_b8 v[10:11], v103 offset:480 glc slc dlc
	s_clause 0xf
	flat_store_b8 v[12:13], v112 glc slc dlc
	flat_store_b8 v[12:13], v113 offset:32 glc slc dlc
	flat_store_b8 v[12:13], v114 offset:64 glc slc dlc
	;; [unrolled: 1-line block ×15, first 2 shown]
	v_add_co_u32 v10, s16, v10, v80
	s_delay_alu instid0(VALU_DEP_1) | instskip(SKIP_1) | instid1(VALU_DEP_1)
	v_add_co_ci_u32_e64 v11, s16, v11, v81, s16
	v_add_co_u32 v12, s16, v12, v80
	v_add_co_ci_u32_e64 v13, s16, v13, v81, s16
	s_or_b32 s18, vcc_lo, s18
	s_delay_alu instid0(SALU_CYCLE_1)
	s_and_not1_b32 exec_lo, exec_lo, s18
	s_cbranch_execnz .LBB8_739
; %bb.740:                              ;   in Loop: Header=BB8_107 Depth=1
	s_or_b32 exec_lo, exec_lo, s18
.LBB8_741:                              ;   in Loop: Header=BB8_107 Depth=1
	s_delay_alu instid0(SALU_CYCLE_1) | instskip(SKIP_1) | instid1(VALU_DEP_1)
	s_or_b32 exec_lo, exec_lo, s17
	v_lshlrev_b32_e32 v10, 9, v102
	v_cmp_ne_u32_e32 vcc_lo, v99, v10
	s_and_b32 exec_lo, exec_lo, vcc_lo
	s_cbranch_execz .LBB8_748
; %bb.742:                              ;   in Loop: Header=BB8_107 Depth=1
	v_ashrrev_i32_e32 v11, 31, v100
	v_lshlrev_b32_e32 v12, 5, v101
	s_delay_alu instid0(VALU_DEP_2) | instskip(NEXT) | instid1(VALU_DEP_1)
	v_lshrrev_b32_e32 v11, 27, v11
	v_add_nc_u32_e32 v11, v100, v11
	s_delay_alu instid0(VALU_DEP_1) | instskip(NEXT) | instid1(VALU_DEP_1)
	v_and_b32_e32 v11, 0xffffffe0, v11
	v_sub_nc_u32_e32 v11, v100, v11
	s_delay_alu instid0(VALU_DEP_1) | instskip(NEXT) | instid1(VALU_DEP_1)
	v_sub_nc_u32_e32 v11, v11, v12
	v_add_nc_u32_e32 v10, v10, v11
	s_delay_alu instid0(VALU_DEP_1) | instskip(NEXT) | instid1(VALU_DEP_1)
	v_sub_nc_u32_e32 v12, v99, v10
	v_cmp_lt_i32_e32 vcc_lo, 0, v12
	s_and_b32 exec_lo, exec_lo, vcc_lo
	s_cbranch_execz .LBB8_748
; %bb.743:                              ;   in Loop: Header=BB8_107 Depth=1
	s_cbranch_execnz .LBB8_1519
; %bb.744:                              ;   in Loop: Header=BB8_107 Depth=1
	ds_load_b64 v[37:38], v0
	ds_load_b128 v[99:102], v0
	v_add_nc_u32_e32 v98, v10, v98
	s_mov_b32 s31, 0
	s_delay_alu instid0(VALU_DEP_1) | instskip(SKIP_2) | instid1(VALU_DEP_2)
	v_ashrrev_i32_e32 v103, 31, v98
	s_waitcnt lgkmcnt(1)
	v_add_co_u32 v10, vcc_lo, v37, v98
	v_add_co_ci_u32_e32 v11, vcc_lo, v38, v103, vcc_lo
	s_waitcnt lgkmcnt(0)
	v_add_co_u32 v13, vcc_lo, v99, v98
	v_add_co_ci_u32_e32 v37, vcc_lo, v100, v103, vcc_lo
	v_add_co_u32 v38, vcc_lo, v101, v98
	v_add_co_ci_u32_e32 v98, vcc_lo, v102, v103, vcc_lo
	s_set_inst_prefetch_distance 0x1
.LBB8_745:                              ;   Parent Loop BB8_107 Depth=1
                                        ; =>  This Loop Header: Depth=2
                                        ;       Child Loop BB8_746 Depth 3
	flat_load_u8 v99, v[10:11] slc dlc
	s_mov_b64 s[18:19], 0
	s_mov_b32 s34, -1
.LBB8_746:                              ;   Parent Loop BB8_107 Depth=1
                                        ;     Parent Loop BB8_745 Depth=2
                                        ; =>    This Inner Loop Header: Depth=3
	s_cmp_eq_u32 s18, 1
	s_cselect_b32 vcc_lo, -1, 0
	s_cmp_eq_u32 s18, 0
	v_cndmask_b32_e32 v100, v13, v38, vcc_lo
	v_cndmask_b32_e32 v101, v37, v98, vcc_lo
	s_mov_b64 s[18:19], 1
	s_delay_alu instid0(VALU_DEP_2) | instskip(NEXT) | instid1(VALU_DEP_1)
	v_add_co_u32 v102, s16, v100, 32
	v_add_co_ci_u32_e64 v103, s16, 0, v101, s16
	s_cselect_b32 s16, -1, 0
	s_delay_alu instid0(VALU_DEP_2) | instskip(SKIP_1) | instid1(VALU_DEP_3)
	v_cndmask_b32_e32 v38, v38, v102, vcc_lo
	v_cndmask_b32_e64 v13, v13, v102, s16
	v_cndmask_b32_e32 v98, v98, v103, vcc_lo
	v_cndmask_b32_e64 v37, v37, v103, s16
	s_and_b32 s17, exec_lo, s34
	s_mov_b32 s34, 0
	s_mov_b32 vcc_lo, s17
	s_waitcnt vmcnt(0) lgkmcnt(0)
	flat_store_b8 v[100:101], v99 glc slc dlc
	s_cbranch_vccnz .LBB8_746
; %bb.747:                              ;   in Loop: Header=BB8_745 Depth=2
	v_add_co_u32 v13, vcc_lo, v13, v71
	v_sub_nc_u32_e32 v12, v12, v67
	v_add_co_ci_u32_e32 v37, vcc_lo, v37, v82, vcc_lo
	v_add_co_u32 v38, vcc_lo, v38, v71
	v_add_co_ci_u32_e32 v98, vcc_lo, v98, v82, vcc_lo
	s_delay_alu instid0(VALU_DEP_4) | instskip(SKIP_1) | instid1(VALU_DEP_1)
	v_cmp_gt_i32_e32 vcc_lo, 1, v12
	v_add_co_u32 v10, s16, v84, v10
	v_add_co_ci_u32_e64 v11, s16, v85, v11, s16
	s_or_b32 s31, vcc_lo, s31
	s_delay_alu instid0(SALU_CYCLE_1)
	s_and_not1_b32 exec_lo, exec_lo, s31
	s_cbranch_execnz .LBB8_745
.LBB8_748:                              ;   in Loop: Header=BB8_107 Depth=1
	s_set_inst_prefetch_distance 0x2
	s_or_b32 exec_lo, exec_lo, s30
	s_mov_b32 s16, 0
	s_branch .LBB8_750
.LBB8_749:                              ;   in Loop: Header=BB8_107 Depth=1
	s_mov_b32 s16, -1
.LBB8_750:                              ;   in Loop: Header=BB8_107 Depth=1
	s_delay_alu instid0(SALU_CYCLE_1)
	s_and_b32 vcc_lo, exec_lo, s16
	s_cbranch_vccz .LBB8_783
; %bb.751:                              ;   in Loop: Header=BB8_107 Depth=1
	s_mov_b32 s16, -1
	s_and_saveexec_b32 s17, s10
	s_cbranch_execz .LBB8_753
; %bb.752:                              ;   in Loop: Header=BB8_107 Depth=1
	ds_load_b32 v10, v0 offset:720
	s_waitcnt lgkmcnt(0)
	v_and_b32_e32 v10, 15, v10
	s_delay_alu instid0(VALU_DEP_1)
	v_cmp_eq_u32_e32 vcc_lo, 0, v10
	s_or_not1_b32 s16, vcc_lo, exec_lo
.LBB8_753:                              ;   in Loop: Header=BB8_107 Depth=1
	s_or_b32 exec_lo, exec_lo, s17
	s_and_saveexec_b32 s17, s10
	s_cbranch_execz .LBB8_755
; %bb.754:                              ;   in Loop: Header=BB8_107 Depth=1
	ds_load_b32 v10, v0 offset:784
	s_waitcnt lgkmcnt(0)
	v_and_b32_e32 v10, 15, v10
	s_delay_alu instid0(VALU_DEP_1) | instskip(SKIP_3) | instid1(SALU_CYCLE_1)
	v_cmp_eq_u32_e32 vcc_lo, 0, v10
	s_and_b32 s18, s16, vcc_lo
	s_and_not1_b32 s16, s16, exec_lo
	s_and_b32 s18, s18, exec_lo
	s_or_b32 s16, s16, s18
.LBB8_755:                              ;   in Loop: Header=BB8_107 Depth=1
	s_or_b32 exec_lo, exec_lo, s17
	s_xor_b32 s16, s16, -1
	v_dual_mov_b32 v38, 0 :: v_dual_mov_b32 v37, v1
	v_cndmask_b32_e64 v10, 0, 1, s16
	;;#ASMSTART
	;;#ASMEND
	s_delay_alu instid0(VALU_DEP_1)
	v_cmp_ne_u32_e32 vcc_lo, 0, v10
	v_dual_mov_b32 v98, v0 :: v_dual_mov_b32 v101, v51
	s_mov_b32 s16, -1
	s_cbranch_vccnz .LBB8_771
; %bb.756:                              ;   in Loop: Header=BB8_107 Depth=1
	v_ashrrev_i32_e32 v10, 31, v1
	s_mov_b32 s17, exec_lo
	s_delay_alu instid0(VALU_DEP_1) | instskip(NEXT) | instid1(VALU_DEP_1)
	v_lshrrev_b32_e32 v10, 21, v10
	v_add_nc_u32_e32 v10, v1, v10
	s_delay_alu instid0(VALU_DEP_1) | instskip(NEXT) | instid1(VALU_DEP_1)
	v_ashrrev_i32_e32 v37, 11, v10
	v_sub_nc_u32_e32 v99, v37, v51
	s_delay_alu instid0(VALU_DEP_1)
	v_cmpx_lt_i32_e32 0, v99
	s_cbranch_execz .LBB8_761
; %bb.757:                              ;   in Loop: Header=BB8_107 Depth=1
	s_cbranch_execnz .LBB8_1493
; %bb.758:                              ;   in Loop: Header=BB8_107 Depth=1
	ds_load_b64 v[10:11], v0
	s_mov_b32 s18, 0
	s_waitcnt lgkmcnt(0)
	v_dual_mov_b32 v13, v11 :: v_dual_mov_b32 v12, v10
	s_set_inst_prefetch_distance 0x1
.LBB8_759:                              ;   Parent Loop BB8_107 Depth=1
                                        ; =>  This Inner Loop Header: Depth=2
	s_delay_alu instid0(VALU_DEP_1) | instskip(NEXT) | instid1(VALU_DEP_2)
	v_add_co_u32 v128, vcc_lo, v83, v12
	v_add_co_ci_u32_e32 v129, vcc_lo, v86, v13, vcc_lo
	v_add_co_u32 v132, vcc_lo, v83, v10
	v_sub_nc_u32_e32 v99, v99, v54
	s_clause 0x3
	global_load_b128 v[100:103], v[128:129], off slc dlc
	global_load_b128 v[112:115], v[128:129], off offset:512 slc dlc
	global_load_b128 v[116:119], v[128:129], off offset:1024 slc dlc
	;; [unrolled: 1-line block ×3, first 2 shown]
	v_add_co_ci_u32_e32 v133, vcc_lo, v86, v11, vcc_lo
	v_add_co_u32 v12, vcc_lo, v12, v87
	v_add_co_ci_u32_e32 v13, vcc_lo, v13, v96, vcc_lo
	v_add_co_u32 v10, vcc_lo, v10, v87
	v_cmp_gt_i32_e64 s16, 1, v99
	v_add_co_ci_u32_e32 v11, vcc_lo, v11, v96, vcc_lo
	s_waitcnt vmcnt(3)
	global_store_b128 v[132:133], v[100:103], off glc slc dlc
	s_waitcnt vmcnt(2)
	global_store_b128 v[132:133], v[112:115], off offset:512 glc slc dlc
	s_waitcnt vmcnt(1)
	global_store_b128 v[132:133], v[116:119], off offset:1024 glc slc dlc
	;; [unrolled: 2-line block ×3, first 2 shown]
	s_or_b32 s18, s16, s18
	s_delay_alu instid0(SALU_CYCLE_1)
	s_and_not1_b32 exec_lo, exec_lo, s18
	s_cbranch_execnz .LBB8_759
; %bb.760:                              ;   in Loop: Header=BB8_107 Depth=1
	s_set_inst_prefetch_distance 0x2
	s_or_b32 exec_lo, exec_lo, s18
.LBB8_761:                              ;   in Loop: Header=BB8_107 Depth=1
	s_delay_alu instid0(SALU_CYCLE_1) | instskip(SKIP_4) | instid1(VALU_DEP_2)
	s_or_b32 exec_lo, exec_lo, s17
	v_lshlrev_b32_e32 v12, 11, v37
	v_mov_b32_e32 v38, 0
	s_mov_b32 s16, 0
	s_mov_b32 s18, exec_lo
                                        ; implicit-def: $vgpr37
                                        ; implicit-def: $vgpr98
                                        ; implicit-def: $vgpr101
	v_cmpx_ne_u32_e64 v1, v12
	s_cbranch_execz .LBB8_770
; %bb.762:                              ;   in Loop: Header=BB8_107 Depth=1
	v_lshlrev_b32_e32 v10, 5, v99
	v_sub_nc_u32_e32 v37, v1, v12
	s_mov_b32 s19, exec_lo
	s_delay_alu instid0(VALU_DEP_2) | instskip(NEXT) | instid1(VALU_DEP_2)
	v_sub_nc_u32_e32 v10, v53, v10
	v_ashrrev_i32_e32 v13, 31, v37
	s_delay_alu instid0(VALU_DEP_2) | instskip(NEXT) | instid1(VALU_DEP_2)
	v_ashrrev_i32_e32 v11, 31, v10
	v_lshrrev_b32_e32 v13, 23, v13
	s_delay_alu instid0(VALU_DEP_2) | instskip(NEXT) | instid1(VALU_DEP_2)
	v_lshrrev_b32_e32 v11, 27, v11
	v_add_nc_u32_e32 v98, v37, v13
	s_delay_alu instid0(VALU_DEP_2) | instskip(NEXT) | instid1(VALU_DEP_2)
	v_add_nc_u32_e32 v11, v10, v11
	v_and_b32_e32 v13, 0xfffffe00, v98
	v_ashrrev_i32_e32 v98, 9, v98
	s_delay_alu instid0(VALU_DEP_3) | instskip(NEXT) | instid1(VALU_DEP_3)
	v_and_b32_e32 v38, 0xffffffe0, v11
	v_sub_nc_u32_e32 v100, v37, v13
	s_delay_alu instid0(VALU_DEP_2) | instskip(SKIP_1) | instid1(VALU_DEP_3)
	v_sub_nc_u32_e32 v99, v10, v38
	v_ashrrev_i32_e32 v10, 5, v11
	v_cmp_lt_i32_e32 vcc_lo, 15, v100
	s_delay_alu instid0(VALU_DEP_3) | instskip(NEXT) | instid1(VALU_DEP_1)
	v_lshlrev_b32_e32 v11, 4, v99
	v_lshl_add_u32 v38, v10, 9, v11
	v_add_co_ci_u32_e64 v11, s16, 0, v98, vcc_lo
	s_delay_alu instid0(VALU_DEP_2) | instskip(NEXT) | instid1(VALU_DEP_2)
	v_sub_nc_u32_e32 v37, v37, v38
	v_sub_nc_u32_e32 v102, v11, v10
	s_delay_alu instid0(VALU_DEP_2)
	v_cmpx_lt_i32_e32 15, v37
	s_cbranch_execz .LBB8_767
; %bb.763:                              ;   in Loop: Header=BB8_107 Depth=1
	s_cbranch_execnz .LBB8_1541
; %bb.764:                              ;   in Loop: Header=BB8_107 Depth=1
	ds_load_b64 v[10:11], v0
	v_add_nc_u32_e32 v38, v38, v12
	s_mov_b32 s30, 0
	s_delay_alu instid0(VALU_DEP_1)
	v_ashrrev_i32_e32 v98, 31, v38
.LBB8_765:                              ;   Parent Loop BB8_107 Depth=1
                                        ; =>  This Inner Loop Header: Depth=2
	s_waitcnt lgkmcnt(0)
	v_add_co_u32 v116, s16, v10, v38
	s_delay_alu instid0(VALU_DEP_1)
	v_add_co_ci_u32_e64 v117, s16, v11, v98, s16
	v_sub_nc_u32_e32 v37, v37, v64
	v_add_co_u32 v38, s17, v38, v80
	global_load_b128 v[112:115], v[116:117], off slc dlc
	v_sub_nc_u32_e32 v102, v102, v54
	v_cmp_gt_i32_e64 s16, 16, v37
	v_add_co_ci_u32_e64 v98, s17, v98, v81, s17
	s_delay_alu instid0(VALU_DEP_2)
	s_or_b32 s30, s16, s30
	s_waitcnt vmcnt(0)
	global_store_b128 v[116:117], v[112:115], off glc slc dlc
	s_and_not1_b32 exec_lo, exec_lo, s30
	s_cbranch_execnz .LBB8_765
; %bb.766:                              ;   in Loop: Header=BB8_107 Depth=1
	s_or_b32 exec_lo, exec_lo, s30
.LBB8_767:                              ;   in Loop: Header=BB8_107 Depth=1
	s_delay_alu instid0(SALU_CYCLE_1) | instskip(SKIP_3) | instid1(VALU_DEP_1)
	s_or_b32 exec_lo, exec_lo, s19
	v_and_b32_e32 v10, 15, v1
	s_mov_b32 s17, 0
	s_mov_b32 s19, exec_lo
                                        ; implicit-def: $vgpr98
                                        ; implicit-def: $vgpr101
	v_dual_mov_b32 v38, 0 :: v_dual_cndmask_b32 v37, v100, v10
	s_delay_alu instid0(VALU_DEP_1)
	v_cmpx_ne_u32_e32 0, v37
; %bb.768:                              ;   in Loop: Header=BB8_107 Depth=1
	v_cmp_lt_i32_e64 s16, 0, v102
	v_sub_nc_u32_e32 v10, v100, v10
	s_mov_b32 s17, exec_lo
	s_delay_alu instid0(VALU_DEP_2) | instskip(NEXT) | instid1(VALU_DEP_1)
	v_cndmask_b32_e64 v11, 0, v54, s16
	v_sub_nc_u32_e32 v11, v11, v102
	s_delay_alu instid0(VALU_DEP_1) | instskip(NEXT) | instid1(VALU_DEP_1)
	v_lshl_add_u32 v98, v11, 5, v99
	v_ashrrev_i32_e32 v11, 31, v98
	s_delay_alu instid0(VALU_DEP_1) | instskip(NEXT) | instid1(VALU_DEP_1)
	v_lshrrev_b32_e32 v11, 27, v11
	v_dual_cndmask_b32 v10, 0, v10 :: v_dual_add_nc_u32 v11, v98, v11
	s_delay_alu instid0(VALU_DEP_1) | instskip(NEXT) | instid1(VALU_DEP_2)
	v_add3_u32 v38, v13, v12, v10
	v_ashrrev_i32_e32 v101, 5, v11
; %bb.769:                              ;   in Loop: Header=BB8_107 Depth=1
	s_or_b32 exec_lo, exec_lo, s19
	s_delay_alu instid0(SALU_CYCLE_1)
	s_and_b32 s16, s17, exec_lo
.LBB8_770:                              ;   in Loop: Header=BB8_107 Depth=1
	s_or_b32 exec_lo, exec_lo, s18
.LBB8_771:                              ;   in Loop: Header=BB8_107 Depth=1
	s_and_saveexec_b32 s17, s16
	s_cbranch_execz .LBB8_782
; %bb.772:                              ;   in Loop: Header=BB8_107 Depth=1
	v_ashrrev_i32_e32 v10, 31, v37
	s_mov_b32 s16, exec_lo
	s_delay_alu instid0(VALU_DEP_1) | instskip(NEXT) | instid1(VALU_DEP_1)
	v_lshrrev_b32_e32 v10, 23, v10
	v_add_nc_u32_e32 v10, v37, v10
	s_delay_alu instid0(VALU_DEP_1) | instskip(NEXT) | instid1(VALU_DEP_1)
	v_ashrrev_i32_e32 v100, 9, v10
	v_sub_nc_u32_e32 v99, v100, v101
	s_delay_alu instid0(VALU_DEP_1)
	v_cmpx_lt_i32_e32 0, v99
	s_cbranch_execz .LBB8_777
; %bb.773:                              ;   in Loop: Header=BB8_107 Depth=1
	s_cbranch_execnz .LBB8_1487
; %bb.774:                              ;   in Loop: Header=BB8_107 Depth=1
	v_ashrrev_i32_e32 v10, 31, v98
	s_mov_b32 s18, 0
	s_delay_alu instid0(VALU_DEP_1) | instskip(NEXT) | instid1(VALU_DEP_1)
	v_lshrrev_b32_e32 v10, 27, v10
	v_add_nc_u32_e32 v12, v98, v10
	ds_load_b64 v[10:11], v0
	v_lshlrev_b32_e32 v13, 9, v101
	v_and_b32_e32 v12, 0xffffffe0, v12
	s_delay_alu instid0(VALU_DEP_1) | instskip(NEXT) | instid1(VALU_DEP_1)
	v_sub_nc_u32_e32 v12, v98, v12
	v_add3_u32 v101, v38, v12, v13
	s_delay_alu instid0(VALU_DEP_1)
	v_ashrrev_i32_e32 v102, 31, v101
	s_waitcnt lgkmcnt(0)
	v_dual_mov_b32 v13, v11 :: v_dual_mov_b32 v12, v10
.LBB8_775:                              ;   Parent Loop BB8_107 Depth=1
                                        ; =>  This Inner Loop Header: Depth=2
	s_delay_alu instid0(VALU_DEP_1) | instskip(NEXT) | instid1(VALU_DEP_2)
	v_add_co_u32 v112, vcc_lo, v101, v12
	v_add_co_ci_u32_e32 v113, vcc_lo, v102, v13, vcc_lo
	v_sub_nc_u32_e32 v99, v99, v54
	s_clause 0xf
	flat_load_u8 v103, v[112:113] slc dlc
	flat_load_u8 v114, v[112:113] offset:32 slc dlc
	flat_load_u8 v115, v[112:113] offset:64 slc dlc
	;; [unrolled: 1-line block ×15, first 2 shown]
	v_add_co_u32 v112, vcc_lo, v101, v10
	v_add_co_ci_u32_e32 v113, vcc_lo, v102, v11, vcc_lo
	v_add_co_u32 v12, vcc_lo, v12, v80
	v_add_co_ci_u32_e32 v13, vcc_lo, v13, v81, vcc_lo
	;; [unrolled: 2-line block ×3, first 2 shown]
	v_cmp_gt_i32_e32 vcc_lo, 1, v99
	s_waitcnt vmcnt(15) lgkmcnt(15)
	flat_store_b8 v[112:113], v103 glc slc dlc
	s_waitcnt vmcnt(14) lgkmcnt(15)
	flat_store_b8 v[112:113], v114 offset:32 glc slc dlc
	s_waitcnt vmcnt(13) lgkmcnt(15)
	flat_store_b8 v[112:113], v115 offset:64 glc slc dlc
	;; [unrolled: 2-line block ×15, first 2 shown]
	s_or_b32 s18, vcc_lo, s18
	s_delay_alu instid0(SALU_CYCLE_1)
	s_and_not1_b32 exec_lo, exec_lo, s18
	s_cbranch_execnz .LBB8_775
; %bb.776:                              ;   in Loop: Header=BB8_107 Depth=1
	s_or_b32 exec_lo, exec_lo, s18
.LBB8_777:                              ;   in Loop: Header=BB8_107 Depth=1
	s_delay_alu instid0(SALU_CYCLE_1) | instskip(SKIP_1) | instid1(VALU_DEP_1)
	s_or_b32 exec_lo, exec_lo, s16
	v_lshlrev_b32_e32 v10, 9, v100
	v_cmp_ne_u32_e32 vcc_lo, v37, v10
	s_and_b32 exec_lo, exec_lo, vcc_lo
	s_cbranch_execz .LBB8_782
; %bb.778:                              ;   in Loop: Header=BB8_107 Depth=1
	v_ashrrev_i32_e32 v11, 31, v98
	v_lshlrev_b32_e32 v12, 5, v99
	s_delay_alu instid0(VALU_DEP_2) | instskip(NEXT) | instid1(VALU_DEP_1)
	v_lshrrev_b32_e32 v11, 27, v11
	v_add_nc_u32_e32 v11, v98, v11
	s_delay_alu instid0(VALU_DEP_1) | instskip(NEXT) | instid1(VALU_DEP_1)
	v_and_b32_e32 v11, 0xffffffe0, v11
	v_sub_nc_u32_e32 v11, v98, v11
	s_delay_alu instid0(VALU_DEP_1) | instskip(NEXT) | instid1(VALU_DEP_1)
	v_sub_nc_u32_e32 v11, v11, v12
	v_add_nc_u32_e32 v13, v10, v11
	s_delay_alu instid0(VALU_DEP_1) | instskip(NEXT) | instid1(VALU_DEP_1)
	v_sub_nc_u32_e32 v12, v37, v13
	v_cmp_lt_i32_e32 vcc_lo, 0, v12
	s_and_b32 exec_lo, exec_lo, vcc_lo
	s_cbranch_execz .LBB8_782
; %bb.779:                              ;   in Loop: Header=BB8_107 Depth=1
	s_cbranch_execnz .LBB8_1537
; %bb.780:                              ;   in Loop: Header=BB8_107 Depth=1
	ds_load_b64 v[10:11], v0
	v_add_nc_u32_e32 v13, v13, v38
	s_mov_b32 s18, 0
	s_delay_alu instid0(VALU_DEP_1)
	v_ashrrev_i32_e32 v37, 31, v13
.LBB8_781:                              ;   Parent Loop BB8_107 Depth=1
                                        ; =>  This Inner Loop Header: Depth=2
	s_waitcnt lgkmcnt(0)
	v_add_co_u32 v98, vcc_lo, v10, v13
	s_delay_alu instid0(VALU_DEP_2)
	v_add_co_ci_u32_e32 v99, vcc_lo, v11, v37, vcc_lo
	v_sub_nc_u32_e32 v12, v12, v67
	v_add_co_u32 v13, s16, v13, v84
	flat_load_u8 v38, v[98:99] slc dlc
	v_add_co_ci_u32_e64 v37, s16, v37, v85, s16
	v_cmp_gt_i32_e32 vcc_lo, 1, v12
	s_or_b32 s18, vcc_lo, s18
	s_waitcnt vmcnt(0) lgkmcnt(0)
	flat_store_b8 v[98:99], v38 glc slc dlc
	s_and_not1_b32 exec_lo, exec_lo, s18
	s_cbranch_execnz .LBB8_781
.LBB8_782:                              ;   in Loop: Header=BB8_107 Depth=1
	s_or_b32 exec_lo, exec_lo, s17
.LBB8_783:                              ;   in Loop: Header=BB8_107 Depth=1
	v_cmp_lt_i32_e64 s16, 0, v1
.LBB8_784:                              ;   in Loop: Header=BB8_107 Depth=1
	s_and_saveexec_b32 s17, s3
	s_cbranch_execz .LBB8_806
; %bb.785:                              ;   in Loop: Header=BB8_107 Depth=1
	s_and_saveexec_b32 s18, s4
	s_delay_alu instid0(SALU_CYCLE_1)
	s_xor_b32 s18, exec_lo, s18
	s_cbranch_execz .LBB8_803
; %bb.786:                              ;   in Loop: Header=BB8_107 Depth=1
	s_and_saveexec_b32 s19, s5
	s_cbranch_execz .LBB8_802
; %bb.787:                              ;   in Loop: Header=BB8_107 Depth=1
	s_mov_b32 s31, exec_lo
	s_mov_b32 s30, exec_lo
	v_mbcnt_lo_u32_b32 v1, s31, 0
	s_waitcnt lgkmcnt(0)
	s_waitcnt_vscnt null, 0x0
	buffer_gl1_inv
	buffer_gl0_inv
	v_cmpx_eq_u32_e32 0, v1
	s_cbranch_execz .LBB8_789
; %bb.788:                              ;   in Loop: Header=BB8_107 Depth=1
	s_bcnt1_i32_b32 vcc_lo, s31
	s_delay_alu instid0(SALU_CYCLE_1)
	v_mov_b32_e32 v1, vcc_lo
	ds_add_u64 v0, v[1:2]
	s_cbranch_execnz .LBB8_1453
.LBB8_789:                              ;   in Loop: Header=BB8_107 Depth=1
	s_or_b32 exec_lo, exec_lo, s30
	s_cbranch_execnz .LBB8_1396
; %bb.790:                              ;   in Loop: Header=BB8_107 Depth=1
	ds_load_b64 v[10:11], v0
	v_add_co_u32 v24, vcc_lo, v24, v54
	v_add_co_ci_u32_e32 v25, vcc_lo, 0, v25, vcc_lo
	s_mov_b32 s30, exec_lo
	s_waitcnt lgkmcnt(0)
	s_delay_alu instid0(VALU_DEP_1)
	v_cmpx_lt_u64_e64 v[10:11], v[24:25]
	s_cbranch_execz .LBB8_801
; %bb.791:                              ;   in Loop: Header=BB8_107 Depth=1
	s_mov_b32 s31, 0
	s_mov_b32 s36, 0
                                        ; implicit-def: $sgpr34
                                        ; implicit-def: $sgpr35
	s_branch .LBB8_793
.LBB8_792:                              ;   in Loop: Header=BB8_793 Depth=2
	s_or_b32 exec_lo, exec_lo, s38
	s_delay_alu instid0(SALU_CYCLE_1) | instskip(NEXT) | instid1(SALU_CYCLE_1)
	s_and_b32 vcc_lo, exec_lo, vcc_lo
	s_or_b32 s31, vcc_lo, s31
	s_and_not1_b32 vcc_lo, s34, exec_lo
	s_and_b32 s34, s35, exec_lo
	s_delay_alu instid0(SALU_CYCLE_1)
	s_or_b32 s34, vcc_lo, s34
	s_and_not1_b32 exec_lo, exec_lo, s31
	s_cbranch_execz .LBB8_799
.LBB8_793:                              ;   Parent Loop BB8_107 Depth=1
                                        ; =>  This Inner Loop Header: Depth=2
	s_add_i32 s36, s36, 1
                                        ; implicit-def: $sgpr38
	s_delay_alu instid0(SALU_CYCLE_1) | instskip(SKIP_1) | instid1(SALU_CYCLE_1)
	s_cmpk_lg_i32 s36, 0x2710
	s_cselect_b32 s37, -1, 0
	s_and_b32 vcc_lo, exec_lo, s37
	s_cbranch_vccz .LBB8_797
.LBB8_794:                              ;   in Loop: Header=BB8_793 Depth=2
	s_and_not1_b32 s35, s35, exec_lo
	s_and_b32 s38, s38, exec_lo
	s_mov_b32 vcc_lo, -1
	s_or_b32 s35, s35, s38
	s_and_saveexec_b32 s38, s37
	s_cbranch_execz .LBB8_792
; %bb.795:                              ;   in Loop: Header=BB8_793 Depth=2
	s_sleep 1
	s_cbranch_execnz .LBB8_1499
; %bb.796:                              ;   in Loop: Header=BB8_793 Depth=2
	ds_load_b64 v[10:11], v0
	s_and_not1_b32 s35, s35, exec_lo
	s_waitcnt lgkmcnt(0)
	v_cmp_ge_u64_e32 vcc_lo, v[10:11], v[24:25]
	s_or_not1_b32 vcc_lo, vcc_lo, exec_lo
	s_branch .LBB8_792
.LBB8_797:                              ;   in Loop: Header=BB8_793 Depth=2
	s_cbranch_execnz .LBB8_1513
; %bb.798:                              ;   in Loop: Header=BB8_793 Depth=2
	ds_load_b64 v[10:11], v0
	s_and_not1_b32 s37, s37, exec_lo
	s_mov_b32 s36, 0
	s_mov_b32 s38, -1
	s_waitcnt lgkmcnt(0)
	flat_load_b32 v1, v[10:11] glc
	s_waitcnt vmcnt(0) lgkmcnt(0)
	buffer_gl1_inv
	buffer_gl0_inv
	v_cmp_eq_u32_e32 vcc_lo, 0, v1
	s_and_b32 vcc_lo, vcc_lo, exec_lo
	s_delay_alu instid0(SALU_CYCLE_1)
	s_or_b32 s37, s37, vcc_lo
	s_branch .LBB8_794
.LBB8_799:                              ;   in Loop: Header=BB8_107 Depth=1
	s_or_b32 exec_lo, exec_lo, s31
	s_and_saveexec_b32 vcc_lo, s34
	s_delay_alu instid0(SALU_CYCLE_1)
	s_xor_b32 vcc_lo, exec_lo, vcc_lo
	s_cbranch_execz .LBB8_801
; %bb.800:                              ;   in Loop: Header=BB8_107 Depth=1
	ds_store_b32 v0, v97
	s_cbranch_execnz .LBB8_1581
.LBB8_801:                              ;   in Loop: Header=BB8_107 Depth=1
	s_or_b32 exec_lo, exec_lo, s30
	;;#ASMSTART
	s_wakeup
	;;#ASMEND
.LBB8_802:                              ;   in Loop: Header=BB8_107 Depth=1
	s_or_b32 exec_lo, exec_lo, s19
.LBB8_803:                              ;   in Loop: Header=BB8_107 Depth=1
	s_and_not1_saveexec_b32 s18, s18
	s_cbranch_execz .LBB8_805
; %bb.804:                              ;   in Loop: Header=BB8_107 Depth=1
	s_waitcnt lgkmcnt(0)
	s_waitcnt_vscnt null, 0x0
	buffer_gl1_inv
	buffer_gl0_inv
	s_barrier
.LBB8_805:                              ;   in Loop: Header=BB8_107 Depth=1
	s_or_b32 exec_lo, exec_lo, s18
.LBB8_806:                              ;   in Loop: Header=BB8_107 Depth=1
	s_delay_alu instid0(SALU_CYCLE_1) | instskip(SKIP_1) | instid1(SALU_CYCLE_1)
	s_or_b32 exec_lo, exec_lo, s17
                                        ; implicit-def: $vgpr1
	s_and_saveexec_b32 s17, s11
	s_xor_b32 s17, exec_lo, s17
	s_cbranch_execz .LBB8_810
; %bb.807:                              ;   in Loop: Header=BB8_107 Depth=1
	v_and_b32_e32 v1, 16, v48
	s_delay_alu instid0(VALU_DEP_1) | instskip(SKIP_2) | instid1(SALU_CYCLE_1)
	v_cmp_ne_u32_e32 vcc_lo, 0, v1
	v_and_b32_e32 v1, 16, v48
	s_and_b32 s18, vcc_lo, s16
	s_and_saveexec_b32 s16, s18
	s_cbranch_execz .LBB8_809
; %bb.808:                              ;   in Loop: Header=BB8_107 Depth=1
	v_mov_b32_e32 v1, 1
	s_waitcnt lgkmcnt(0)
	s_waitcnt_vscnt null, 0x0
	buffer_gl1_inv
	buffer_gl0_inv
.LBB8_809:                              ;   in Loop: Header=BB8_107 Depth=1
	s_or_b32 exec_lo, exec_lo, s16
.LBB8_810:                              ;   in Loop: Header=BB8_107 Depth=1
	s_and_not1_saveexec_b32 s16, s17
	s_cbranch_execz .LBB8_832
; %bb.811:                              ;   in Loop: Header=BB8_107 Depth=1
	s_and_saveexec_b32 s17, s4
	s_delay_alu instid0(SALU_CYCLE_1)
	s_xor_b32 s17, exec_lo, s17
	s_cbranch_execz .LBB8_829
; %bb.812:                              ;   in Loop: Header=BB8_107 Depth=1
	s_and_saveexec_b32 s18, s5
	s_cbranch_execz .LBB8_828
; %bb.813:                              ;   in Loop: Header=BB8_107 Depth=1
	s_mov_b32 s30, exec_lo
	s_mov_b32 s19, exec_lo
	v_mbcnt_lo_u32_b32 v1, s30, 0
	;;#ASMSTART
	s_waitcnt lgkmcnt(0) vmcnt(0)
	;;#ASMEND
	s_delay_alu instid0(VALU_DEP_1)
	v_cmpx_eq_u32_e32 0, v1
	s_cbranch_execz .LBB8_815
; %bb.814:                              ;   in Loop: Header=BB8_107 Depth=1
	s_bcnt1_i32_b32 vcc_lo, s30
	s_delay_alu instid0(SALU_CYCLE_1)
	v_mov_b32_e32 v1, vcc_lo
	ds_add_u64 v0, v[1:2]
	s_cbranch_execnz .LBB8_1461
.LBB8_815:                              ;   in Loop: Header=BB8_107 Depth=1
	s_or_b32 exec_lo, exec_lo, s19
	s_cbranch_execnz .LBB8_1406
; %bb.816:                              ;   in Loop: Header=BB8_107 Depth=1
	ds_load_b64 v[10:11], v0
	v_add_co_u32 v24, vcc_lo, v24, v54
	v_add_co_ci_u32_e32 v25, vcc_lo, 0, v25, vcc_lo
	s_mov_b32 s19, exec_lo
	s_waitcnt lgkmcnt(0)
	s_delay_alu instid0(VALU_DEP_1)
	v_cmpx_lt_u64_e64 v[10:11], v[24:25]
	s_cbranch_execz .LBB8_827
; %bb.817:                              ;   in Loop: Header=BB8_107 Depth=1
	s_mov_b32 s30, 0
	s_mov_b32 s35, 0
                                        ; implicit-def: $sgpr31
                                        ; implicit-def: $sgpr34
	s_branch .LBB8_819
.LBB8_818:                              ;   in Loop: Header=BB8_819 Depth=2
	s_or_b32 exec_lo, exec_lo, s37
	s_delay_alu instid0(SALU_CYCLE_1) | instskip(NEXT) | instid1(SALU_CYCLE_1)
	s_and_b32 vcc_lo, exec_lo, vcc_lo
	s_or_b32 s30, vcc_lo, s30
	s_and_not1_b32 vcc_lo, s31, exec_lo
	s_and_b32 s31, s34, exec_lo
	s_delay_alu instid0(SALU_CYCLE_1)
	s_or_b32 s31, vcc_lo, s31
	s_and_not1_b32 exec_lo, exec_lo, s30
	s_cbranch_execz .LBB8_825
.LBB8_819:                              ;   Parent Loop BB8_107 Depth=1
                                        ; =>  This Inner Loop Header: Depth=2
	s_add_i32 s35, s35, 1
                                        ; implicit-def: $sgpr37
	s_delay_alu instid0(SALU_CYCLE_1) | instskip(SKIP_1) | instid1(SALU_CYCLE_1)
	s_cmpk_lg_i32 s35, 0x2710
	s_cselect_b32 s36, -1, 0
	s_and_b32 vcc_lo, exec_lo, s36
	s_cbranch_vccz .LBB8_823
.LBB8_820:                              ;   in Loop: Header=BB8_819 Depth=2
	s_and_not1_b32 s34, s34, exec_lo
	s_and_b32 s37, s37, exec_lo
	s_mov_b32 vcc_lo, -1
	s_or_b32 s34, s34, s37
	s_and_saveexec_b32 s37, s36
	s_cbranch_execz .LBB8_818
; %bb.821:                              ;   in Loop: Header=BB8_819 Depth=2
	s_sleep 1
	s_cbranch_execnz .LBB8_1505
; %bb.822:                              ;   in Loop: Header=BB8_819 Depth=2
	ds_load_b64 v[10:11], v0
	s_and_not1_b32 s34, s34, exec_lo
	s_waitcnt lgkmcnt(0)
	v_cmp_ge_u64_e32 vcc_lo, v[10:11], v[24:25]
	s_or_not1_b32 vcc_lo, vcc_lo, exec_lo
	s_branch .LBB8_818
.LBB8_823:                              ;   in Loop: Header=BB8_819 Depth=2
	s_cbranch_execnz .LBB8_1523
; %bb.824:                              ;   in Loop: Header=BB8_819 Depth=2
	ds_load_b64 v[10:11], v0
	s_and_not1_b32 s36, s36, exec_lo
	s_mov_b32 s35, 0
	s_mov_b32 s37, -1
	s_waitcnt lgkmcnt(0)
	s_waitcnt_vscnt null, 0x0
	flat_load_b32 v1, v[10:11] glc
	s_waitcnt vmcnt(0) lgkmcnt(0)
	buffer_gl1_inv
	buffer_gl0_inv
	v_cmp_eq_u32_e32 vcc_lo, 0, v1
	s_and_b32 vcc_lo, vcc_lo, exec_lo
	s_delay_alu instid0(SALU_CYCLE_1)
	s_or_b32 s36, s36, vcc_lo
	s_branch .LBB8_820
.LBB8_825:                              ;   in Loop: Header=BB8_107 Depth=1
	s_or_b32 exec_lo, exec_lo, s30
	s_and_saveexec_b32 vcc_lo, s31
	s_delay_alu instid0(SALU_CYCLE_1)
	s_xor_b32 vcc_lo, exec_lo, vcc_lo
	s_cbranch_execz .LBB8_827
; %bb.826:                              ;   in Loop: Header=BB8_107 Depth=1
	ds_store_b32 v0, v97
	s_cbranch_execnz .LBB8_1585
.LBB8_827:                              ;   in Loop: Header=BB8_107 Depth=1
	s_or_b32 exec_lo, exec_lo, s19
	;;#ASMSTART
	s_wakeup
	;;#ASMEND
.LBB8_828:                              ;   in Loop: Header=BB8_107 Depth=1
	s_or_b32 exec_lo, exec_lo, s18
.LBB8_829:                              ;   in Loop: Header=BB8_107 Depth=1
	s_and_not1_saveexec_b32 s17, s17
	s_cbranch_execz .LBB8_831
; %bb.830:                              ;   in Loop: Header=BB8_107 Depth=1
	;;#ASMSTART
	s_waitcnt lgkmcnt(0) vmcnt(0)
	;;#ASMEND
	s_waitcnt lgkmcnt(0)
	s_waitcnt_vscnt null, 0x0
	s_barrier
.LBB8_831:                              ;   in Loop: Header=BB8_107 Depth=1
	s_or_b32 exec_lo, exec_lo, s17
	v_and_b32_e32 v1, 16, v48
.LBB8_832:                              ;   in Loop: Header=BB8_107 Depth=1
	s_or_b32 exec_lo, exec_lo, s16
	s_delay_alu instid0(SALU_CYCLE_1) | instskip(NEXT) | instid1(VALU_DEP_1)
	s_mov_b32 s16, exec_lo
	v_cmpx_ne_u32_e32 0, v1
	s_cbranch_execz .LBB8_836
; %bb.833:                              ;   in Loop: Header=BB8_107 Depth=1
	s_and_saveexec_b32 s17, s13
	s_cbranch_execz .LBB8_835
; %bb.834:                              ;   in Loop: Header=BB8_107 Depth=1
	s_waitcnt lgkmcnt(0)
	s_waitcnt_vscnt null, 0x0
	flat_store_b32 v[26:27], v97
.LBB8_835:                              ;   in Loop: Header=BB8_107 Depth=1
	s_or_b32 exec_lo, exec_lo, s17
	v_add_co_u32 v8, vcc_lo, v8, 1
	v_add_co_ci_u32_e32 v9, vcc_lo, 0, v9, vcc_lo
	s_waitcnt lgkmcnt(0)
	s_waitcnt_vscnt null, 0x0
	flat_store_b64 v[20:21], v[8:9]
.LBB8_836:                              ;   in Loop: Header=BB8_107 Depth=1
	s_or_b32 exec_lo, exec_lo, s16
	v_mov_b32_e32 v12, v36
	v_readlane_b32 s17, v42, 0
.LBB8_837:                              ;   in Loop: Header=BB8_107 Depth=1
	s_delay_alu instid0(VALU_DEP_1)
	s_or_b32 exec_lo, exec_lo, s17
	s_mov_b32 s16, 0
	s_mov_b32 s18, s28
	s_and_saveexec_b32 s17, s14
	s_cbranch_execz .LBB8_914
; %bb.838:                              ;   in Loop: Header=BB8_107 Depth=1
	v_and_b32_e32 v1, 8, v48
	s_mov_b32 s18, -1
	s_mov_b32 s16, exec_lo
	s_delay_alu instid0(VALU_DEP_1)
	v_cmpx_ne_u32_e32 0, v1
	s_cbranch_execz .LBB8_852
; %bb.839:                              ;   in Loop: Header=BB8_107 Depth=1
	v_add_co_u32 v37, vcc_lo, v28, 8
	v_add_co_ci_u32_e32 v38, vcc_lo, 0, v29, vcc_lo
	v_add_co_u32 v10, vcc_lo, v8, 1
	v_add_co_ci_u32_e32 v11, vcc_lo, 0, v9, vcc_lo
	v_mov_b32_e32 v1, 1
	s_mov_b32 s18, exec_lo
	s_delay_alu instid0(VALU_DEP_2)
	v_cmpx_lt_u64_e64 v[37:38], v[10:11]
	s_cbranch_execz .LBB8_851
; %bb.840:                              ;   in Loop: Header=BB8_107 Depth=1
	v_mov_b32_e32 v1, 0
	s_mov_b32 s19, 0
                                        ; implicit-def: $sgpr30
	s_branch .LBB8_844
.LBB8_841:                              ;   in Loop: Header=BB8_844 Depth=2
	s_or_b32 exec_lo, exec_lo, s36
	v_mov_b32_e32 v13, 0
	s_or_not1_b32 s35, s35, exec_lo
.LBB8_842:                              ;   in Loop: Header=BB8_844 Depth=2
	s_or_b32 exec_lo, exec_lo, s34
	s_delay_alu instid0(VALU_DEP_1) | instskip(SKIP_2) | instid1(SALU_CYCLE_1)
	v_mov_b32_e32 v1, v13
	s_and_not1_b32 vcc_lo, s30, exec_lo
	s_and_b32 s30, s35, exec_lo
	s_or_b32 s30, vcc_lo, s30
.LBB8_843:                              ;   in Loop: Header=BB8_844 Depth=2
	s_or_b32 exec_lo, exec_lo, s31
	s_waitcnt vmcnt(0) lgkmcnt(0)
	v_add_co_u32 v37, vcc_lo, v28, 8
	v_add_co_ci_u32_e32 v38, vcc_lo, 0, v29, vcc_lo
	s_xor_b32 s31, s30, -1
	s_delay_alu instid0(VALU_DEP_1) | instskip(SKIP_1) | instid1(SALU_CYCLE_1)
	v_cmp_ge_u64_e32 vcc_lo, v[37:38], v[10:11]
	s_or_b32 vcc_lo, s31, vcc_lo
	s_and_b32 vcc_lo, exec_lo, vcc_lo
	s_delay_alu instid0(SALU_CYCLE_1) | instskip(NEXT) | instid1(SALU_CYCLE_1)
	s_or_b32 s19, vcc_lo, s19
	s_and_not1_b32 exec_lo, exec_lo, s19
	s_cbranch_execz .LBB8_850
.LBB8_844:                              ;   Parent Loop BB8_107 Depth=1
                                        ; =>  This Inner Loop Header: Depth=2
	s_sleep 1
	flat_load_b64 v[28:29], v[20:21] glc
	v_and_b32_e32 v13, 64, v48
	s_and_not1_b32 s30, s30, exec_lo
	s_mov_b32 s31, exec_lo
	s_delay_alu instid0(VALU_DEP_1)
	v_cmpx_eq_u32_e32 0, v13
	s_cbranch_execz .LBB8_843
; %bb.845:                              ;   in Loop: Header=BB8_844 Depth=2
	v_add_nc_u32_e32 v13, 1, v1
	s_mov_b32 s35, -1
	s_mov_b32 s34, exec_lo
	v_cmpx_lt_i32_e32 0x270e, v1
	s_cbranch_execz .LBB8_842
; %bb.846:                              ;   in Loop: Header=BB8_844 Depth=2
	s_cbranch_execnz .LBB8_1250
; %bb.847:                              ;   in Loop: Header=BB8_844 Depth=2
	ds_load_b64 v[37:38], v0
	s_mov_b32 s36, exec_lo
	s_waitcnt vmcnt(0) lgkmcnt(0)
	s_waitcnt_vscnt null, 0x0
	flat_load_b32 v1, v[37:38] glc
	s_waitcnt vmcnt(0) lgkmcnt(0)
	buffer_gl1_inv
	buffer_gl0_inv
	v_cmpx_ne_u32_e32 0, v1
	s_cbranch_execz .LBB8_841
; %bb.848:                              ;   in Loop: Header=BB8_844 Depth=2
	ds_store_b32 v0, v1
	s_cbranch_execnz .LBB8_1288
; %bb.849:                              ;   in Loop: Header=BB8_844 Depth=2
	v_or_b32_e32 v48, 64, v48
	s_xor_b32 s35, exec_lo, -1
	s_branch .LBB8_841
.LBB8_850:                              ;   in Loop: Header=BB8_107 Depth=1
	s_or_b32 exec_lo, exec_lo, s19
	v_and_b32_e32 v1, 8, v48
.LBB8_851:                              ;   in Loop: Header=BB8_107 Depth=1
	s_or_b32 exec_lo, exec_lo, s18
	s_delay_alu instid0(VALU_DEP_1)
	v_cmp_eq_u32_e32 vcc_lo, 0, v1
	;;#ASMSTART
	s_wakeup
	;;#ASMEND
	s_or_not1_b32 s18, vcc_lo, exec_lo
.LBB8_852:                              ;   in Loop: Header=BB8_107 Depth=1
	s_or_b32 exec_lo, exec_lo, s16
	v_sub_nc_u32_e32 v1, v39, v12
	s_xor_b32 s16, s18, -1
	s_delay_alu instid0(VALU_DEP_1)
	v_min_i32_e32 v10, v36, v1
	s_and_saveexec_b32 s18, s16
	s_cbranch_execz .LBB8_862
; %bb.853:                              ;   in Loop: Header=BB8_107 Depth=1
	v_and_b32_e32 v1, 0x100, v48
	s_mov_b32 s16, -1
                                        ; implicit-def: $vgpr11_vgpr12
	s_delay_alu instid0(VALU_DEP_1)
	v_cmp_ne_u32_e32 vcc_lo, 0, v1
	v_and_b32_e32 v1, 7, v8
	s_and_saveexec_b32 s19, vcc_lo
	s_cbranch_execz .LBB8_857
; %bb.854:                              ;   in Loop: Header=BB8_107 Depth=1
	s_delay_alu instid0(VALU_DEP_1)
	v_mad_u64_u32 v[36:37], null, v1, 24, v[6:7]
	v_ashrrev_i32_e32 v11, 31, v10
	flat_load_b32 v12, v[36:37]
	flat_store_b64 v[36:37], v[10:11] offset:8
	s_waitcnt vmcnt(0) lgkmcnt(1)
	v_cmp_ne_u32_e32 vcc_lo, 1, v12
	v_cmp_eq_u32_e64 s16, 1, v12
                                        ; implicit-def: $vgpr11_vgpr12
	s_delay_alu instid0(VALU_DEP_1)
	s_and_saveexec_b32 s30, s16
	s_cbranch_execz .LBB8_856
; %bb.855:                              ;   in Loop: Header=BB8_107 Depth=1
	flat_load_b32 v11, v[36:37] offset:4 glc
	s_waitcnt vmcnt(0) lgkmcnt(0)
	v_ashrrev_i32_e32 v12, 31, v11
.LBB8_856:                              ;   in Loop: Header=BB8_107 Depth=1
	s_or_b32 exec_lo, exec_lo, s30
	s_delay_alu instid0(SALU_CYCLE_1)
	s_or_not1_b32 s16, vcc_lo, exec_lo
.LBB8_857:                              ;   in Loop: Header=BB8_107 Depth=1
	s_or_b32 exec_lo, exec_lo, s19
	s_and_saveexec_b32 s19, s16
; %bb.858:                              ;   in Loop: Header=BB8_107 Depth=1
	v_mad_i64_i32 v[11:12], null, v1, v49, 0
; %bb.859:                              ;   in Loop: Header=BB8_107 Depth=1
	s_or_b32 exec_lo, exec_lo, s19
	s_delay_alu instid0(VALU_DEP_1) | instskip(SKIP_1) | instid1(VALU_DEP_3)
	v_add_co_u32 v11, vcc_lo, v22, v11
	v_and_b32_e32 v1, 0x2000, v48
	v_add_co_ci_u32_e32 v12, vcc_lo, v23, v12, vcc_lo
	s_mov_b32 s16, exec_lo
	ds_store_b64 v0, v[11:12] offset:792
	v_cmpx_ne_u32_e32 0, v1
	s_cbranch_execz .LBB8_861
; %bb.860:                              ;   in Loop: Header=BB8_107 Depth=1
	ds_load_b64 v[11:12], v0 offset:584
	s_waitcnt lgkmcnt(0)
	v_add_co_u32 v11, vcc_lo, v11, 1
	v_add_co_ci_u32_e32 v12, vcc_lo, 0, v12, vcc_lo
	ds_store_b64 v0, v[11:12] offset:584
.LBB8_861:                              ;   in Loop: Header=BB8_107 Depth=1
	s_or_b32 exec_lo, exec_lo, s16
	v_add_co_u32 v8, vcc_lo, v8, 1
	v_add_co_ci_u32_e32 v9, vcc_lo, 0, v9, vcc_lo
.LBB8_862:                              ;   in Loop: Header=BB8_107 Depth=1
	s_or_b32 exec_lo, exec_lo, s18
	s_and_saveexec_b32 s16, s3
	s_cbranch_execz .LBB8_884
; %bb.863:                              ;   in Loop: Header=BB8_107 Depth=1
	s_and_saveexec_b32 s18, s4
	s_delay_alu instid0(SALU_CYCLE_1)
	s_xor_b32 s18, exec_lo, s18
	s_cbranch_execz .LBB8_881
; %bb.864:                              ;   in Loop: Header=BB8_107 Depth=1
	s_and_saveexec_b32 s19, s5
	s_cbranch_execz .LBB8_880
; %bb.865:                              ;   in Loop: Header=BB8_107 Depth=1
	s_mov_b32 s31, exec_lo
	s_mov_b32 s30, exec_lo
	v_mbcnt_lo_u32_b32 v1, s31, 0
	s_waitcnt lgkmcnt(0)
	s_waitcnt_vscnt null, 0x0
	buffer_gl1_inv
	buffer_gl0_inv
	v_cmpx_eq_u32_e32 0, v1
	s_cbranch_execz .LBB8_867
; %bb.866:                              ;   in Loop: Header=BB8_107 Depth=1
	s_bcnt1_i32_b32 vcc_lo, s31
	s_delay_alu instid0(SALU_CYCLE_1)
	v_mov_b32_e32 v1, vcc_lo
	ds_add_u64 v0, v[1:2]
	s_cbranch_execnz .LBB8_1318
.LBB8_867:                              ;   in Loop: Header=BB8_107 Depth=1
	s_or_b32 exec_lo, exec_lo, s30
	s_cbranch_execnz .LBB8_1296
; %bb.868:                              ;   in Loop: Header=BB8_107 Depth=1
	ds_load_b64 v[11:12], v0
	v_add_co_u32 v24, vcc_lo, v24, v54
	v_add_co_ci_u32_e32 v25, vcc_lo, 0, v25, vcc_lo
	s_mov_b32 s30, exec_lo
	s_waitcnt lgkmcnt(0)
	s_delay_alu instid0(VALU_DEP_1)
	v_cmpx_lt_u64_e64 v[11:12], v[24:25]
	s_cbranch_execz .LBB8_879
; %bb.869:                              ;   in Loop: Header=BB8_107 Depth=1
	s_mov_b32 s31, 0
	s_mov_b32 s36, 0
                                        ; implicit-def: $sgpr34
                                        ; implicit-def: $sgpr35
	s_branch .LBB8_871
.LBB8_870:                              ;   in Loop: Header=BB8_871 Depth=2
	s_or_b32 exec_lo, exec_lo, s38
	s_delay_alu instid0(SALU_CYCLE_1) | instskip(NEXT) | instid1(SALU_CYCLE_1)
	s_and_b32 vcc_lo, exec_lo, vcc_lo
	s_or_b32 s31, vcc_lo, s31
	s_and_not1_b32 vcc_lo, s34, exec_lo
	s_and_b32 s34, s35, exec_lo
	s_delay_alu instid0(SALU_CYCLE_1)
	s_or_b32 s34, vcc_lo, s34
	s_and_not1_b32 exec_lo, exec_lo, s31
	s_cbranch_execz .LBB8_877
.LBB8_871:                              ;   Parent Loop BB8_107 Depth=1
                                        ; =>  This Inner Loop Header: Depth=2
	s_add_i32 s36, s36, 1
                                        ; implicit-def: $sgpr38
	s_delay_alu instid0(SALU_CYCLE_1) | instskip(SKIP_1) | instid1(SALU_CYCLE_1)
	s_cmpk_lg_i32 s36, 0x2710
	s_cselect_b32 s37, -1, 0
	s_and_b32 vcc_lo, exec_lo, s37
	s_cbranch_vccz .LBB8_875
.LBB8_872:                              ;   in Loop: Header=BB8_871 Depth=2
	s_and_not1_b32 s35, s35, exec_lo
	s_and_b32 s38, s38, exec_lo
	s_mov_b32 vcc_lo, -1
	s_or_b32 s35, s35, s38
	s_and_saveexec_b32 s38, s37
	s_cbranch_execz .LBB8_870
; %bb.873:                              ;   in Loop: Header=BB8_871 Depth=2
	s_sleep 1
	s_cbranch_execnz .LBB8_1370
; %bb.874:                              ;   in Loop: Header=BB8_871 Depth=2
	ds_load_b64 v[11:12], v0
	s_and_not1_b32 s35, s35, exec_lo
	s_waitcnt lgkmcnt(0)
	v_cmp_ge_u64_e32 vcc_lo, v[11:12], v[24:25]
	s_or_not1_b32 vcc_lo, vcc_lo, exec_lo
	s_branch .LBB8_870
.LBB8_875:                              ;   in Loop: Header=BB8_871 Depth=2
	s_cbranch_execnz .LBB8_1384
; %bb.876:                              ;   in Loop: Header=BB8_871 Depth=2
	ds_load_b64 v[11:12], v0
	s_and_not1_b32 s37, s37, exec_lo
	s_mov_b32 s36, 0
	s_mov_b32 s38, -1
	s_waitcnt lgkmcnt(0)
	flat_load_b32 v1, v[11:12] glc
	s_waitcnt vmcnt(0) lgkmcnt(0)
	buffer_gl1_inv
	buffer_gl0_inv
	v_cmp_eq_u32_e32 vcc_lo, 0, v1
	s_and_b32 vcc_lo, vcc_lo, exec_lo
	s_delay_alu instid0(SALU_CYCLE_1)
	s_or_b32 s37, s37, vcc_lo
	s_branch .LBB8_872
.LBB8_877:                              ;   in Loop: Header=BB8_107 Depth=1
	s_or_b32 exec_lo, exec_lo, s31
	s_and_saveexec_b32 vcc_lo, s34
	s_delay_alu instid0(SALU_CYCLE_1)
	s_xor_b32 vcc_lo, exec_lo, vcc_lo
	s_cbranch_execz .LBB8_879
; %bb.878:                              ;   in Loop: Header=BB8_107 Depth=1
	ds_store_b32 v0, v97
	s_cbranch_execnz .LBB8_1551
.LBB8_879:                              ;   in Loop: Header=BB8_107 Depth=1
	s_or_b32 exec_lo, exec_lo, s30
	;;#ASMSTART
	s_wakeup
	;;#ASMEND
.LBB8_880:                              ;   in Loop: Header=BB8_107 Depth=1
	s_or_b32 exec_lo, exec_lo, s19
.LBB8_881:                              ;   in Loop: Header=BB8_107 Depth=1
	s_and_not1_saveexec_b32 s18, s18
	s_cbranch_execz .LBB8_883
; %bb.882:                              ;   in Loop: Header=BB8_107 Depth=1
	s_waitcnt lgkmcnt(0)
	s_waitcnt_vscnt null, 0x0
	buffer_gl1_inv
	buffer_gl0_inv
	s_barrier
.LBB8_883:                              ;   in Loop: Header=BB8_107 Depth=1
	s_or_b32 exec_lo, exec_lo, s18
.LBB8_884:                              ;   in Loop: Header=BB8_107 Depth=1
	s_delay_alu instid0(SALU_CYCLE_1) | instskip(SKIP_1) | instid1(SALU_CYCLE_1)
	s_or_b32 exec_lo, exec_lo, s16
                                        ; implicit-def: $vgpr1
	s_and_saveexec_b32 s16, s11
	s_xor_b32 s18, exec_lo, s16
	s_cbranch_execz .LBB8_889
; %bb.885:                              ;   in Loop: Header=BB8_107 Depth=1
	s_cbranch_execnz .LBB8_1241
; %bb.886:                              ;   in Loop: Header=BB8_107 Depth=1
	ds_load_b32 v1, v0
	v_cmp_lt_i32_e32 vcc_lo, 0, v10
	s_waitcnt lgkmcnt(0)
	v_readfirstlane_b32 s16, v1
	v_and_b32_e32 v1, 16, v48
	s_delay_alu instid0(VALU_DEP_2) | instskip(NEXT) | instid1(VALU_DEP_1)
	s_cmp_eq_u32 s16, 0
	v_cmp_ne_u32_e64 s16, 0, v1
	s_cselect_b32 s19, -1, 0
	v_and_b32_e32 v1, 16, v48
	s_and_b32 s19, vcc_lo, s19
	s_delay_alu instid0(VALU_DEP_2) | instid1(SALU_CYCLE_1)
	s_and_b32 s19, s16, s19
	s_delay_alu instid0(SALU_CYCLE_1)
	s_and_saveexec_b32 s16, s19
	s_cbranch_execz .LBB8_888
; %bb.887:                              ;   in Loop: Header=BB8_107 Depth=1
	v_mov_b32_e32 v1, 1
	s_waitcnt_vscnt null, 0x0
	buffer_gl1_inv
	buffer_gl0_inv
.LBB8_888:                              ;   in Loop: Header=BB8_107 Depth=1
	s_or_b32 exec_lo, exec_lo, s16
.LBB8_889:                              ;   in Loop: Header=BB8_107 Depth=1
	s_and_not1_saveexec_b32 s16, s18
	s_cbranch_execz .LBB8_911
; %bb.890:                              ;   in Loop: Header=BB8_107 Depth=1
	s_and_saveexec_b32 s18, s4
	s_delay_alu instid0(SALU_CYCLE_1)
	s_xor_b32 s18, exec_lo, s18
	s_cbranch_execz .LBB8_908
; %bb.891:                              ;   in Loop: Header=BB8_107 Depth=1
	s_and_saveexec_b32 s19, s5
	s_cbranch_execz .LBB8_907
; %bb.892:                              ;   in Loop: Header=BB8_107 Depth=1
	s_mov_b32 s31, exec_lo
	s_mov_b32 s30, exec_lo
	v_mbcnt_lo_u32_b32 v1, s31, 0
	;;#ASMSTART
	s_waitcnt lgkmcnt(0) vmcnt(0)
	;;#ASMEND
	s_delay_alu instid0(VALU_DEP_1)
	v_cmpx_eq_u32_e32 0, v1
	s_cbranch_execz .LBB8_894
; %bb.893:                              ;   in Loop: Header=BB8_107 Depth=1
	s_bcnt1_i32_b32 vcc_lo, s31
	s_delay_alu instid0(SALU_CYCLE_1)
	v_mov_b32_e32 v1, vcc_lo
	ds_add_u64 v0, v[1:2]
	s_cbranch_execnz .LBB8_1338
.LBB8_894:                              ;   in Loop: Header=BB8_107 Depth=1
	s_or_b32 exec_lo, exec_lo, s30
	s_cbranch_execnz .LBB8_1314
; %bb.895:                              ;   in Loop: Header=BB8_107 Depth=1
	ds_load_b64 v[10:11], v0
	v_add_co_u32 v24, vcc_lo, v24, v54
	v_add_co_ci_u32_e32 v25, vcc_lo, 0, v25, vcc_lo
	s_mov_b32 s30, exec_lo
	s_waitcnt lgkmcnt(0)
	s_delay_alu instid0(VALU_DEP_1)
	v_cmpx_lt_u64_e64 v[10:11], v[24:25]
	s_cbranch_execz .LBB8_906
; %bb.896:                              ;   in Loop: Header=BB8_107 Depth=1
	s_mov_b32 s31, 0
	s_mov_b32 s36, 0
                                        ; implicit-def: $sgpr34
                                        ; implicit-def: $sgpr35
	s_branch .LBB8_898
.LBB8_897:                              ;   in Loop: Header=BB8_898 Depth=2
	s_or_b32 exec_lo, exec_lo, s38
	s_delay_alu instid0(SALU_CYCLE_1) | instskip(NEXT) | instid1(SALU_CYCLE_1)
	s_and_b32 vcc_lo, exec_lo, vcc_lo
	s_or_b32 s31, vcc_lo, s31
	s_and_not1_b32 vcc_lo, s34, exec_lo
	s_and_b32 s34, s35, exec_lo
	s_delay_alu instid0(SALU_CYCLE_1)
	s_or_b32 s34, vcc_lo, s34
	s_and_not1_b32 exec_lo, exec_lo, s31
	s_cbranch_execz .LBB8_904
.LBB8_898:                              ;   Parent Loop BB8_107 Depth=1
                                        ; =>  This Inner Loop Header: Depth=2
	s_add_i32 s36, s36, 1
                                        ; implicit-def: $sgpr38
	s_delay_alu instid0(SALU_CYCLE_1) | instskip(SKIP_1) | instid1(SALU_CYCLE_1)
	s_cmpk_lg_i32 s36, 0x2710
	s_cselect_b32 s37, -1, 0
	s_and_b32 vcc_lo, exec_lo, s37
	s_cbranch_vccz .LBB8_902
.LBB8_899:                              ;   in Loop: Header=BB8_898 Depth=2
	s_and_not1_b32 s35, s35, exec_lo
	s_and_b32 s38, s38, exec_lo
	s_mov_b32 vcc_lo, -1
	s_or_b32 s35, s35, s38
	s_and_saveexec_b32 s38, s37
	s_cbranch_execz .LBB8_897
; %bb.900:                              ;   in Loop: Header=BB8_898 Depth=2
	s_sleep 1
	s_cbranch_execnz .LBB8_1402
; %bb.901:                              ;   in Loop: Header=BB8_898 Depth=2
	ds_load_b64 v[10:11], v0
	s_and_not1_b32 s35, s35, exec_lo
	s_waitcnt lgkmcnt(0)
	v_cmp_ge_u64_e32 vcc_lo, v[10:11], v[24:25]
	s_or_not1_b32 vcc_lo, vcc_lo, exec_lo
	s_branch .LBB8_897
.LBB8_902:                              ;   in Loop: Header=BB8_898 Depth=2
	s_cbranch_execnz .LBB8_1439
; %bb.903:                              ;   in Loop: Header=BB8_898 Depth=2
	ds_load_b64 v[10:11], v0
	s_and_not1_b32 s37, s37, exec_lo
	s_mov_b32 s36, 0
	s_mov_b32 s38, -1
	s_waitcnt lgkmcnt(0)
	s_waitcnt_vscnt null, 0x0
	flat_load_b32 v1, v[10:11] glc
	s_waitcnt vmcnt(0) lgkmcnt(0)
	buffer_gl1_inv
	buffer_gl0_inv
	v_cmp_eq_u32_e32 vcc_lo, 0, v1
	s_and_b32 vcc_lo, vcc_lo, exec_lo
	s_delay_alu instid0(SALU_CYCLE_1)
	s_or_b32 s37, s37, vcc_lo
	s_branch .LBB8_899
.LBB8_904:                              ;   in Loop: Header=BB8_107 Depth=1
	s_or_b32 exec_lo, exec_lo, s31
	s_and_saveexec_b32 vcc_lo, s34
	s_delay_alu instid0(SALU_CYCLE_1)
	s_xor_b32 vcc_lo, exec_lo, vcc_lo
	s_cbranch_execz .LBB8_906
; %bb.905:                              ;   in Loop: Header=BB8_107 Depth=1
	ds_store_b32 v0, v97
	s_cbranch_execnz .LBB8_1561
.LBB8_906:                              ;   in Loop: Header=BB8_107 Depth=1
	s_or_b32 exec_lo, exec_lo, s30
	;;#ASMSTART
	s_wakeup
	;;#ASMEND
.LBB8_907:                              ;   in Loop: Header=BB8_107 Depth=1
	s_or_b32 exec_lo, exec_lo, s19
.LBB8_908:                              ;   in Loop: Header=BB8_107 Depth=1
	s_and_not1_saveexec_b32 s18, s18
	s_cbranch_execz .LBB8_910
; %bb.909:                              ;   in Loop: Header=BB8_107 Depth=1
	;;#ASMSTART
	s_waitcnt lgkmcnt(0) vmcnt(0)
	;;#ASMEND
	s_waitcnt lgkmcnt(0)
	s_waitcnt_vscnt null, 0x0
	s_barrier
.LBB8_910:                              ;   in Loop: Header=BB8_107 Depth=1
	s_or_b32 exec_lo, exec_lo, s18
	v_and_b32_e32 v1, 16, v48
.LBB8_911:                              ;   in Loop: Header=BB8_107 Depth=1
	s_or_b32 exec_lo, exec_lo, s16
	s_mov_b32 s16, 0
	s_mov_b32 s18, s28
	s_mov_b32 s19, exec_lo
	v_cmpx_ne_u32_e32 0, v1
	s_xor_b32 s19, exec_lo, s19
; %bb.912:                              ;   in Loop: Header=BB8_107 Depth=1
	s_and_not1_b32 s16, s28, exec_lo
	s_and_b32 s18, s12, exec_lo
	s_delay_alu instid0(SALU_CYCLE_1)
	s_or_b32 s18, s16, s18
	s_and_b32 s16, s13, exec_lo
; %bb.913:                              ;   in Loop: Header=BB8_107 Depth=1
	s_or_b32 exec_lo, exec_lo, s19
	s_delay_alu instid0(SALU_CYCLE_1)
	s_and_not1_b32 s19, s28, exec_lo
	s_and_b32 s18, s18, exec_lo
	s_and_b32 s16, s16, exec_lo
	s_or_b32 s18, s19, s18
.LBB8_914:                              ;   in Loop: Header=BB8_107 Depth=1
	s_or_b32 exec_lo, exec_lo, s17
	s_delay_alu instid0(SALU_CYCLE_1) | instskip(SKIP_1) | instid1(SALU_CYCLE_1)
	s_and_not1_b32 s17, s28, exec_lo
	s_and_b32 s18, s18, exec_lo
                                        ; implicit-def: $vgpr36
                                        ; implicit-def: $vgpr39
                                        ; implicit-def: $vgpr1
                                        ; implicit-def: $vgpr10
	s_or_b32 s17, s17, s18
	s_and_b32 s18, s16, exec_lo
.LBB8_915:                              ;   in Loop: Header=BB8_107 Depth=1
	s_and_not1_saveexec_b32 s19, vcc_hi
	s_cbranch_execz .LBB8_1154
; %bb.916:                              ;   in Loop: Header=BB8_107 Depth=1
	v_mov_b32_e32 v12, 0
	s_and_saveexec_b32 vcc_hi, s15
	s_cbranch_execz .LBB8_1076
; %bb.917:                              ;   in Loop: Header=BB8_107 Depth=1
	s_and_saveexec_b32 s15, s0
	s_cbranch_execz .LBB8_920
; %bb.918:                              ;   in Loop: Header=BB8_107 Depth=1
	s_cbranch_execnz .LBB8_1219
; %bb.919:                              ;   in Loop: Header=BB8_107 Depth=1
	ds_load_b64 v[11:12], v0
	s_waitcnt lgkmcnt(0)
	v_add_co_u32 v11, vcc_lo, v11, v1
	v_add_co_ci_u32_e32 v12, vcc_lo, v12, v10, vcc_lo
	v_mov_b32_e32 v1, v2
	ds_store_b64 v0, v[11:12]
	ds_store_b64 v0, v[1:2]
.LBB8_920:                              ;   in Loop: Header=BB8_107 Depth=1
	s_or_b32 exec_lo, exec_lo, s15
	v_and_b32_e32 v1, 8, v48
	s_mov_b32 s16, -1
	s_mov_b32 s15, exec_lo
	s_delay_alu instid0(VALU_DEP_1)
	v_cmpx_ne_u32_e32 0, v1
	s_cbranch_execz .LBB8_934
; %bb.921:                              ;   in Loop: Header=BB8_107 Depth=1
	v_add_co_u32 v12, vcc_lo, v28, 8
	v_add_co_ci_u32_e32 v13, vcc_lo, 0, v29, vcc_lo
	v_add_co_u32 v10, vcc_lo, v8, 1
	v_add_co_ci_u32_e32 v11, vcc_lo, 0, v9, vcc_lo
	v_mov_b32_e32 v1, 1
	s_mov_b32 s16, exec_lo
	s_delay_alu instid0(VALU_DEP_2)
	v_cmpx_lt_u64_e64 v[12:13], v[10:11]
	s_cbranch_execz .LBB8_933
; %bb.922:                              ;   in Loop: Header=BB8_107 Depth=1
	v_mov_b32_e32 v1, 0
	s_mov_b32 s30, 0
                                        ; implicit-def: $sgpr31
	s_branch .LBB8_926
.LBB8_923:                              ;   in Loop: Header=BB8_926 Depth=2
	s_or_b32 exec_lo, exec_lo, s37
	v_mov_b32_e32 v12, 0
	s_or_not1_b32 s36, s36, exec_lo
.LBB8_924:                              ;   in Loop: Header=BB8_926 Depth=2
	s_or_b32 exec_lo, exec_lo, s35
	s_delay_alu instid0(VALU_DEP_1) | instskip(SKIP_2) | instid1(SALU_CYCLE_1)
	v_mov_b32_e32 v1, v12
	s_and_not1_b32 vcc_lo, s31, exec_lo
	s_and_b32 s31, s36, exec_lo
	s_or_b32 s31, vcc_lo, s31
.LBB8_925:                              ;   in Loop: Header=BB8_926 Depth=2
	s_or_b32 exec_lo, exec_lo, s34
	s_waitcnt vmcnt(0) lgkmcnt(0)
	v_add_co_u32 v12, vcc_lo, v28, 8
	v_add_co_ci_u32_e32 v13, vcc_lo, 0, v29, vcc_lo
	s_xor_b32 s34, s31, -1
	s_delay_alu instid0(VALU_DEP_1) | instskip(SKIP_1) | instid1(SALU_CYCLE_1)
	v_cmp_ge_u64_e32 vcc_lo, v[12:13], v[10:11]
	s_or_b32 vcc_lo, s34, vcc_lo
	s_and_b32 vcc_lo, exec_lo, vcc_lo
	s_delay_alu instid0(SALU_CYCLE_1) | instskip(NEXT) | instid1(SALU_CYCLE_1)
	s_or_b32 s30, vcc_lo, s30
	s_and_not1_b32 exec_lo, exec_lo, s30
	s_cbranch_execz .LBB8_932
.LBB8_926:                              ;   Parent Loop BB8_107 Depth=1
                                        ; =>  This Inner Loop Header: Depth=2
	s_sleep 1
	flat_load_b64 v[28:29], v[20:21] glc
	v_and_b32_e32 v12, 64, v48
	s_and_not1_b32 s31, s31, exec_lo
	s_mov_b32 s34, exec_lo
	s_delay_alu instid0(VALU_DEP_1)
	v_cmpx_eq_u32_e32 0, v12
	s_cbranch_execz .LBB8_925
; %bb.927:                              ;   in Loop: Header=BB8_926 Depth=2
	v_add_nc_u32_e32 v12, 1, v1
	s_mov_b32 s36, -1
	s_mov_b32 s35, exec_lo
	v_cmpx_lt_i32_e32 0x270e, v1
	s_cbranch_execz .LBB8_924
; %bb.928:                              ;   in Loop: Header=BB8_926 Depth=2
	s_cbranch_execnz .LBB8_1252
; %bb.929:                              ;   in Loop: Header=BB8_926 Depth=2
	ds_load_b64 v[12:13], v0
	s_mov_b32 s37, exec_lo
	s_waitcnt vmcnt(0) lgkmcnt(0)
	s_waitcnt_vscnt null, 0x0
	flat_load_b32 v1, v[12:13] glc
	s_waitcnt vmcnt(0) lgkmcnt(0)
	buffer_gl1_inv
	buffer_gl0_inv
	v_cmpx_ne_u32_e32 0, v1
	s_cbranch_execz .LBB8_923
; %bb.930:                              ;   in Loop: Header=BB8_926 Depth=2
	ds_store_b32 v0, v1
	s_cbranch_execnz .LBB8_1290
; %bb.931:                              ;   in Loop: Header=BB8_926 Depth=2
	v_or_b32_e32 v48, 64, v48
	s_xor_b32 s36, exec_lo, -1
	s_branch .LBB8_923
.LBB8_932:                              ;   in Loop: Header=BB8_107 Depth=1
	s_or_b32 exec_lo, exec_lo, s30
	v_and_b32_e32 v1, 8, v48
.LBB8_933:                              ;   in Loop: Header=BB8_107 Depth=1
	s_or_b32 exec_lo, exec_lo, s16
	s_delay_alu instid0(VALU_DEP_1)
	v_cmp_eq_u32_e32 vcc_lo, 0, v1
	;;#ASMSTART
	s_wakeup
	;;#ASMEND
	s_or_not1_b32 s16, vcc_lo, exec_lo
.LBB8_934:                              ;   in Loop: Header=BB8_107 Depth=1
	s_or_b32 exec_lo, exec_lo, s15
	v_min_i32_e32 v36, v36, v39
	s_xor_b32 s15, s16, -1
	s_delay_alu instid0(SALU_CYCLE_1)
	s_and_saveexec_b32 s16, s15
	s_cbranch_execz .LBB8_944
; %bb.935:                              ;   in Loop: Header=BB8_107 Depth=1
	v_and_b32_e32 v1, 0x100, v48
	s_mov_b32 s15, -1
                                        ; implicit-def: $vgpr10_vgpr11
	s_delay_alu instid0(VALU_DEP_1)
	v_cmp_ne_u32_e32 vcc_lo, 0, v1
	v_and_b32_e32 v1, 7, v8
	s_and_saveexec_b32 s30, vcc_lo
	s_cbranch_execz .LBB8_939
; %bb.936:                              ;   in Loop: Header=BB8_107 Depth=1
	s_delay_alu instid0(VALU_DEP_1)
	v_mad_u64_u32 v[12:13], null, v1, 24, v[6:7]
	v_ashrrev_i32_e32 v37, 31, v36
	flat_load_b32 v10, v[12:13]
	flat_store_b64 v[12:13], v[36:37] offset:8
	s_waitcnt vmcnt(0) lgkmcnt(1)
	v_cmp_ne_u32_e32 vcc_lo, 1, v10
	v_cmp_eq_u32_e64 s15, 1, v10
                                        ; implicit-def: $vgpr10_vgpr11
	s_delay_alu instid0(VALU_DEP_1)
	s_and_saveexec_b32 s31, s15
	s_cbranch_execz .LBB8_938
; %bb.937:                              ;   in Loop: Header=BB8_107 Depth=1
	flat_load_b32 v10, v[12:13] offset:4 glc
	s_waitcnt vmcnt(0) lgkmcnt(0)
	v_ashrrev_i32_e32 v11, 31, v10
.LBB8_938:                              ;   in Loop: Header=BB8_107 Depth=1
	s_or_b32 exec_lo, exec_lo, s31
	s_delay_alu instid0(SALU_CYCLE_1)
	s_or_not1_b32 s15, vcc_lo, exec_lo
.LBB8_939:                              ;   in Loop: Header=BB8_107 Depth=1
	s_or_b32 exec_lo, exec_lo, s30
	s_and_saveexec_b32 vcc_lo, s15
; %bb.940:                              ;   in Loop: Header=BB8_107 Depth=1
	v_mad_i64_i32 v[10:11], null, v1, v49, 0
; %bb.941:                              ;   in Loop: Header=BB8_107 Depth=1
	s_or_b32 exec_lo, exec_lo, vcc_lo
	s_delay_alu instid0(VALU_DEP_1) | instskip(SKIP_1) | instid1(VALU_DEP_3)
	v_add_co_u32 v10, vcc_lo, v22, v10
	v_and_b32_e32 v1, 0x2000, v48
	v_add_co_ci_u32_e32 v11, vcc_lo, v23, v11, vcc_lo
	s_mov_b32 s15, exec_lo
	ds_store_b64 v0, v[10:11] offset:784
	v_cmpx_ne_u32_e32 0, v1
	s_cbranch_execz .LBB8_943
; %bb.942:                              ;   in Loop: Header=BB8_107 Depth=1
	ds_load_b64 v[10:11], v0 offset:584
	s_waitcnt lgkmcnt(0)
	v_add_co_u32 v10, vcc_lo, v10, 1
	v_add_co_ci_u32_e32 v11, vcc_lo, 0, v11, vcc_lo
	ds_store_b64 v0, v[10:11] offset:584
.LBB8_943:                              ;   in Loop: Header=BB8_107 Depth=1
	s_or_b32 exec_lo, exec_lo, s15
	v_add_co_u32 v8, vcc_lo, v8, 1
	v_add_co_ci_u32_e32 v9, vcc_lo, 0, v9, vcc_lo
.LBB8_944:                              ;   in Loop: Header=BB8_107 Depth=1
	s_or_b32 exec_lo, exec_lo, s16
	s_and_saveexec_b32 s15, s3
	s_cbranch_execz .LBB8_966
; %bb.945:                              ;   in Loop: Header=BB8_107 Depth=1
	s_and_saveexec_b32 s16, s4
	s_delay_alu instid0(SALU_CYCLE_1)
	s_xor_b32 s16, exec_lo, s16
	s_cbranch_execz .LBB8_963
; %bb.946:                              ;   in Loop: Header=BB8_107 Depth=1
	s_and_saveexec_b32 s30, s5
	s_cbranch_execz .LBB8_962
; %bb.947:                              ;   in Loop: Header=BB8_107 Depth=1
	s_mov_b32 s34, exec_lo
	s_mov_b32 s31, exec_lo
	v_mbcnt_lo_u32_b32 v1, s34, 0
	s_waitcnt lgkmcnt(0)
	s_waitcnt_vscnt null, 0x0
	buffer_gl1_inv
	buffer_gl0_inv
	v_cmpx_eq_u32_e32 0, v1
	s_cbranch_execz .LBB8_949
; %bb.948:                              ;   in Loop: Header=BB8_107 Depth=1
	s_bcnt1_i32_b32 vcc_lo, s34
	s_delay_alu instid0(SALU_CYCLE_1)
	v_mov_b32_e32 v1, vcc_lo
	ds_add_u64 v0, v[1:2]
	s_cbranch_execnz .LBB8_1320
.LBB8_949:                              ;   in Loop: Header=BB8_107 Depth=1
	s_or_b32 exec_lo, exec_lo, s31
	s_cbranch_execnz .LBB8_1298
; %bb.950:                              ;   in Loop: Header=BB8_107 Depth=1
	ds_load_b64 v[10:11], v0
	v_add_co_u32 v24, vcc_lo, v24, v54
	v_add_co_ci_u32_e32 v25, vcc_lo, 0, v25, vcc_lo
	s_mov_b32 s31, exec_lo
	s_waitcnt lgkmcnt(0)
	s_delay_alu instid0(VALU_DEP_1)
	v_cmpx_lt_u64_e64 v[10:11], v[24:25]
	s_cbranch_execz .LBB8_961
; %bb.951:                              ;   in Loop: Header=BB8_107 Depth=1
	s_mov_b32 s34, 0
	s_mov_b32 s37, 0
                                        ; implicit-def: $sgpr35
                                        ; implicit-def: $sgpr36
	s_branch .LBB8_953
.LBB8_952:                              ;   in Loop: Header=BB8_953 Depth=2
	s_or_b32 exec_lo, exec_lo, s39
	s_delay_alu instid0(SALU_CYCLE_1) | instskip(NEXT) | instid1(SALU_CYCLE_1)
	s_and_b32 vcc_lo, exec_lo, vcc_lo
	s_or_b32 s34, vcc_lo, s34
	s_and_not1_b32 vcc_lo, s35, exec_lo
	s_and_b32 s35, s36, exec_lo
	s_delay_alu instid0(SALU_CYCLE_1)
	s_or_b32 s35, vcc_lo, s35
	s_and_not1_b32 exec_lo, exec_lo, s34
	s_cbranch_execz .LBB8_959
.LBB8_953:                              ;   Parent Loop BB8_107 Depth=1
                                        ; =>  This Inner Loop Header: Depth=2
	s_add_i32 s37, s37, 1
                                        ; implicit-def: $sgpr39
	s_delay_alu instid0(SALU_CYCLE_1) | instskip(SKIP_1) | instid1(SALU_CYCLE_1)
	s_cmpk_lg_i32 s37, 0x2710
	s_cselect_b32 s38, -1, 0
	s_and_b32 vcc_lo, exec_lo, s38
	s_cbranch_vccz .LBB8_957
.LBB8_954:                              ;   in Loop: Header=BB8_953 Depth=2
	s_and_not1_b32 s36, s36, exec_lo
	s_and_b32 s39, s39, exec_lo
	s_mov_b32 vcc_lo, -1
	s_or_b32 s36, s36, s39
	s_and_saveexec_b32 s39, s38
	s_cbranch_execz .LBB8_952
; %bb.955:                              ;   in Loop: Header=BB8_953 Depth=2
	s_sleep 1
	s_cbranch_execnz .LBB8_1374
; %bb.956:                              ;   in Loop: Header=BB8_953 Depth=2
	ds_load_b64 v[10:11], v0
	s_and_not1_b32 s36, s36, exec_lo
	s_waitcnt lgkmcnt(0)
	v_cmp_ge_u64_e32 vcc_lo, v[10:11], v[24:25]
	s_or_not1_b32 vcc_lo, vcc_lo, exec_lo
	s_branch .LBB8_952
.LBB8_957:                              ;   in Loop: Header=BB8_953 Depth=2
	s_cbranch_execnz .LBB8_1386
; %bb.958:                              ;   in Loop: Header=BB8_953 Depth=2
	ds_load_b64 v[10:11], v0
	s_and_not1_b32 s38, s38, exec_lo
	s_mov_b32 s37, 0
	s_mov_b32 s39, -1
	s_waitcnt lgkmcnt(0)
	flat_load_b32 v1, v[10:11] glc
	s_waitcnt vmcnt(0) lgkmcnt(0)
	buffer_gl1_inv
	buffer_gl0_inv
	v_cmp_eq_u32_e32 vcc_lo, 0, v1
	s_and_b32 vcc_lo, vcc_lo, exec_lo
	s_delay_alu instid0(SALU_CYCLE_1)
	s_or_b32 s38, s38, vcc_lo
	s_branch .LBB8_954
.LBB8_959:                              ;   in Loop: Header=BB8_107 Depth=1
	s_or_b32 exec_lo, exec_lo, s34
	s_and_saveexec_b32 vcc_lo, s35
	s_delay_alu instid0(SALU_CYCLE_1)
	s_xor_b32 vcc_lo, exec_lo, vcc_lo
	s_cbranch_execz .LBB8_961
; %bb.960:                              ;   in Loop: Header=BB8_107 Depth=1
	ds_store_b32 v0, v97
	s_cbranch_execnz .LBB8_1553
.LBB8_961:                              ;   in Loop: Header=BB8_107 Depth=1
	s_or_b32 exec_lo, exec_lo, s31
	;;#ASMSTART
	s_wakeup
	;;#ASMEND
.LBB8_962:                              ;   in Loop: Header=BB8_107 Depth=1
	s_or_b32 exec_lo, exec_lo, s30
.LBB8_963:                              ;   in Loop: Header=BB8_107 Depth=1
	s_and_not1_saveexec_b32 s16, s16
	s_cbranch_execz .LBB8_965
; %bb.964:                              ;   in Loop: Header=BB8_107 Depth=1
	s_waitcnt lgkmcnt(0)
	s_waitcnt_vscnt null, 0x0
	buffer_gl1_inv
	buffer_gl0_inv
	s_barrier
.LBB8_965:                              ;   in Loop: Header=BB8_107 Depth=1
	s_or_b32 exec_lo, exec_lo, s16
.LBB8_966:                              ;   in Loop: Header=BB8_107 Depth=1
	s_delay_alu instid0(SALU_CYCLE_1)
	s_or_b32 exec_lo, exec_lo, s15
	s_cbranch_execnz .LBB8_1217
; %bb.967:                              ;   in Loop: Header=BB8_107 Depth=1
	ds_load_b32 v10, v0
	v_and_b32_e32 v1, 0x4000, v48
	s_delay_alu instid0(VALU_DEP_1) | instskip(SKIP_1) | instid1(SALU_CYCLE_1)
	v_cmp_ne_u32_e32 vcc_lo, 0, v1
	s_and_b32 s16, s27, vcc_lo
	s_and_saveexec_b32 s15, s16
	s_cbranch_execz .LBB8_989
; %bb.968:                              ;   in Loop: Header=BB8_107 Depth=1
	s_and_saveexec_b32 s16, s4
	s_delay_alu instid0(SALU_CYCLE_1)
	s_xor_b32 s16, exec_lo, s16
	s_cbranch_execz .LBB8_986
; %bb.969:                              ;   in Loop: Header=BB8_107 Depth=1
	s_and_saveexec_b32 s30, s5
	s_cbranch_execz .LBB8_985
; %bb.970:                              ;   in Loop: Header=BB8_107 Depth=1
	s_mov_b32 s34, exec_lo
	s_mov_b32 s31, exec_lo
	v_mbcnt_lo_u32_b32 v1, s34, 0
	s_waitcnt lgkmcnt(0)
	s_waitcnt_vscnt null, 0x0
	buffer_gl1_inv
	buffer_gl0_inv
	v_cmpx_eq_u32_e32 0, v1
	s_cbranch_execz .LBB8_972
; %bb.971:                              ;   in Loop: Header=BB8_107 Depth=1
	s_bcnt1_i32_b32 vcc_lo, s34
	s_delay_alu instid0(SALU_CYCLE_1)
	v_mov_b32_e32 v1, vcc_lo
	ds_add_u64 v0, v[1:2]
	s_cbranch_execnz .LBB8_1364
.LBB8_972:                              ;   in Loop: Header=BB8_107 Depth=1
	s_or_b32 exec_lo, exec_lo, s31
	s_cbranch_execnz .LBB8_1340
; %bb.973:                              ;   in Loop: Header=BB8_107 Depth=1
	ds_load_b64 v[11:12], v0
	v_add_co_u32 v24, vcc_lo, v24, v54
	v_add_co_ci_u32_e32 v25, vcc_lo, 0, v25, vcc_lo
	s_mov_b32 s31, exec_lo
	s_waitcnt lgkmcnt(0)
	s_delay_alu instid0(VALU_DEP_1)
	v_cmpx_lt_u64_e64 v[11:12], v[24:25]
	s_cbranch_execz .LBB8_984
; %bb.974:                              ;   in Loop: Header=BB8_107 Depth=1
	s_mov_b32 s34, 0
	s_mov_b32 s37, 0
                                        ; implicit-def: $sgpr35
                                        ; implicit-def: $sgpr36
	s_branch .LBB8_976
.LBB8_975:                              ;   in Loop: Header=BB8_976 Depth=2
	s_or_b32 exec_lo, exec_lo, s39
	s_delay_alu instid0(SALU_CYCLE_1) | instskip(NEXT) | instid1(SALU_CYCLE_1)
	s_and_b32 vcc_lo, exec_lo, vcc_lo
	s_or_b32 s34, vcc_lo, s34
	s_and_not1_b32 vcc_lo, s35, exec_lo
	s_and_b32 s35, s36, exec_lo
	s_delay_alu instid0(SALU_CYCLE_1)
	s_or_b32 s35, vcc_lo, s35
	s_and_not1_b32 exec_lo, exec_lo, s34
	s_cbranch_execz .LBB8_982
.LBB8_976:                              ;   Parent Loop BB8_107 Depth=1
                                        ; =>  This Inner Loop Header: Depth=2
	s_add_i32 s37, s37, 1
                                        ; implicit-def: $sgpr39
	s_delay_alu instid0(SALU_CYCLE_1) | instskip(SKIP_1) | instid1(SALU_CYCLE_1)
	s_cmpk_lg_i32 s37, 0x2710
	s_cselect_b32 s38, -1, 0
	s_and_b32 vcc_lo, exec_lo, s38
	s_cbranch_vccz .LBB8_980
.LBB8_977:                              ;   in Loop: Header=BB8_976 Depth=2
	s_and_not1_b32 s36, s36, exec_lo
	s_and_b32 s39, s39, exec_lo
	s_mov_b32 vcc_lo, -1
	s_or_b32 s36, s36, s39
	s_and_saveexec_b32 s39, s38
	s_cbranch_execz .LBB8_975
; %bb.978:                              ;   in Loop: Header=BB8_976 Depth=2
	s_sleep 1
	s_cbranch_execnz .LBB8_1459
; %bb.979:                              ;   in Loop: Header=BB8_976 Depth=2
	ds_load_b64 v[11:12], v0
	s_and_not1_b32 s36, s36, exec_lo
	s_waitcnt lgkmcnt(0)
	v_cmp_ge_u64_e32 vcc_lo, v[11:12], v[24:25]
	s_or_not1_b32 vcc_lo, vcc_lo, exec_lo
	s_branch .LBB8_975
.LBB8_980:                              ;   in Loop: Header=BB8_976 Depth=2
	s_cbranch_execnz .LBB8_1475
; %bb.981:                              ;   in Loop: Header=BB8_976 Depth=2
	ds_load_b64 v[11:12], v0
	s_and_not1_b32 s38, s38, exec_lo
	s_mov_b32 s37, 0
	s_mov_b32 s39, -1
	s_waitcnt lgkmcnt(0)
	flat_load_b32 v1, v[11:12] glc
	s_waitcnt vmcnt(0) lgkmcnt(0)
	buffer_gl1_inv
	buffer_gl0_inv
	v_cmp_eq_u32_e32 vcc_lo, 0, v1
	s_and_b32 vcc_lo, vcc_lo, exec_lo
	s_delay_alu instid0(SALU_CYCLE_1)
	s_or_b32 s38, s38, vcc_lo
	s_branch .LBB8_977
.LBB8_982:                              ;   in Loop: Header=BB8_107 Depth=1
	s_or_b32 exec_lo, exec_lo, s34
	s_and_saveexec_b32 vcc_lo, s35
	s_delay_alu instid0(SALU_CYCLE_1)
	s_xor_b32 vcc_lo, exec_lo, vcc_lo
	s_cbranch_execz .LBB8_984
; %bb.983:                              ;   in Loop: Header=BB8_107 Depth=1
	ds_store_b32 v0, v97
	s_cbranch_execnz .LBB8_1573
.LBB8_984:                              ;   in Loop: Header=BB8_107 Depth=1
	s_or_b32 exec_lo, exec_lo, s31
	;;#ASMSTART
	s_wakeup
	;;#ASMEND
.LBB8_985:                              ;   in Loop: Header=BB8_107 Depth=1
	s_or_b32 exec_lo, exec_lo, s30
.LBB8_986:                              ;   in Loop: Header=BB8_107 Depth=1
	s_and_not1_saveexec_b32 s16, s16
	s_cbranch_execz .LBB8_988
; %bb.987:                              ;   in Loop: Header=BB8_107 Depth=1
	s_waitcnt lgkmcnt(0)
	s_waitcnt_vscnt null, 0x0
	buffer_gl1_inv
	buffer_gl0_inv
	s_barrier
.LBB8_988:                              ;   in Loop: Header=BB8_107 Depth=1
	s_or_b32 exec_lo, exec_lo, s16
.LBB8_989:                              ;   in Loop: Header=BB8_107 Depth=1
	s_delay_alu instid0(SALU_CYCLE_1)
	s_or_b32 exec_lo, exec_lo, s15
	s_cbranch_execnz .LBB8_1258
; %bb.990:                              ;   in Loop: Header=BB8_107 Depth=1
	ds_load_b64 v[11:12], v0
	s_waitcnt lgkmcnt(0)
	v_cmp_eq_u64_e32 vcc_lo, 0, v[11:12]
	s_or_b32 s15, vcc_lo, vcc_lo
	s_delay_alu instid0(SALU_CYCLE_1)
	s_and_b32 vcc_lo, exec_lo, s15
	s_mov_b32 s15, 0
	s_cbranch_vccnz .LBB8_1023
; %bb.991:                              ;   in Loop: Header=BB8_107 Depth=1
	s_mov_b32 s15, -1
	s_and_saveexec_b32 s16, s10
	s_cbranch_execz .LBB8_993
; %bb.992:                              ;   in Loop: Header=BB8_107 Depth=1
	ds_load_b32 v1, v0 offset:720
	s_waitcnt lgkmcnt(0)
	v_and_b32_e32 v1, 15, v1
	s_delay_alu instid0(VALU_DEP_1)
	v_cmp_eq_u32_e32 vcc_lo, 0, v1
	s_or_not1_b32 s15, vcc_lo, exec_lo
.LBB8_993:                              ;   in Loop: Header=BB8_107 Depth=1
	s_or_b32 exec_lo, exec_lo, s16
	s_and_saveexec_b32 s16, s6
	s_cbranch_execz .LBB8_995
; %bb.994:                              ;   in Loop: Header=BB8_107 Depth=1
	ds_load_b32 v1, v0 offset:784
	s_waitcnt lgkmcnt(0)
	v_and_b32_e32 v1, 15, v1
	s_delay_alu instid0(VALU_DEP_1) | instskip(SKIP_3) | instid1(SALU_CYCLE_1)
	v_cmp_eq_u32_e32 vcc_lo, 0, v1
	s_and_b32 vcc_lo, s15, vcc_lo
	s_and_not1_b32 s15, s15, exec_lo
	s_and_b32 vcc_lo, vcc_lo, exec_lo
	s_or_b32 s15, s15, vcc_lo
.LBB8_995:                              ;   in Loop: Header=BB8_107 Depth=1
	s_or_b32 exec_lo, exec_lo, s16
	v_cmp_eq_u32_e32 vcc_lo, 0, v10
	s_xor_b32 s15, s15, -1
	v_mov_b32_e32 v101, v51
	v_cndmask_b32_e64 v11, 0, 1, s15
	;;#ASMSTART
	;;#ASMEND
	v_dual_cndmask_b32 v1, 0, v36 :: v_dual_mov_b32 v38, 0
	s_delay_alu instid0(VALU_DEP_2) | instskip(SKIP_1) | instid1(VALU_DEP_2)
	v_cmp_ne_u32_e32 vcc_lo, 0, v11
	s_mov_b32 s15, -1
	v_dual_mov_b32 v98, v0 :: v_dual_mov_b32 v37, v1
	s_cbranch_vccnz .LBB8_1011
; %bb.996:                              ;   in Loop: Header=BB8_107 Depth=1
	v_ashrrev_i32_e32 v10, 31, v1
	s_mov_b32 s16, exec_lo
	s_delay_alu instid0(VALU_DEP_1) | instskip(NEXT) | instid1(VALU_DEP_1)
	v_lshrrev_b32_e32 v10, 21, v10
	v_add_nc_u32_e32 v10, v1, v10
	s_delay_alu instid0(VALU_DEP_1) | instskip(NEXT) | instid1(VALU_DEP_1)
	v_ashrrev_i32_e32 v37, 11, v10
	v_sub_nc_u32_e32 v99, v37, v51
	s_delay_alu instid0(VALU_DEP_1)
	v_cmpx_lt_i32_e32 0, v99
	s_cbranch_execz .LBB8_1001
; %bb.997:                              ;   in Loop: Header=BB8_107 Depth=1
	s_cbranch_execnz .LBB8_1390
; %bb.998:                              ;   in Loop: Header=BB8_107 Depth=1
	ds_load_b64 v[10:11], v0
	s_mov_b32 s30, 0
	s_waitcnt lgkmcnt(0)
	v_dual_mov_b32 v13, v11 :: v_dual_mov_b32 v12, v10
	s_set_inst_prefetch_distance 0x1
.LBB8_999:                              ;   Parent Loop BB8_107 Depth=1
                                        ; =>  This Inner Loop Header: Depth=2
	s_delay_alu instid0(VALU_DEP_1) | instskip(NEXT) | instid1(VALU_DEP_2)
	v_add_co_u32 v128, vcc_lo, v83, v12
	v_add_co_ci_u32_e32 v129, vcc_lo, v86, v13, vcc_lo
	v_add_co_u32 v132, vcc_lo, v83, v10
	v_sub_nc_u32_e32 v99, v99, v54
	s_clause 0x3
	global_load_b128 v[100:103], v[128:129], off slc dlc
	global_load_b128 v[112:115], v[128:129], off offset:512 slc dlc
	global_load_b128 v[116:119], v[128:129], off offset:1024 slc dlc
	;; [unrolled: 1-line block ×3, first 2 shown]
	v_add_co_ci_u32_e32 v133, vcc_lo, v86, v11, vcc_lo
	v_add_co_u32 v12, vcc_lo, v12, v87
	v_add_co_ci_u32_e32 v13, vcc_lo, v13, v96, vcc_lo
	v_add_co_u32 v10, vcc_lo, v10, v87
	v_cmp_gt_i32_e64 s15, 1, v99
	v_add_co_ci_u32_e32 v11, vcc_lo, v11, v96, vcc_lo
	s_waitcnt vmcnt(3)
	global_store_b128 v[132:133], v[100:103], off glc slc dlc
	s_waitcnt vmcnt(2)
	global_store_b128 v[132:133], v[112:115], off offset:512 glc slc dlc
	s_waitcnt vmcnt(1)
	global_store_b128 v[132:133], v[116:119], off offset:1024 glc slc dlc
	;; [unrolled: 2-line block ×3, first 2 shown]
	s_or_b32 s30, s15, s30
	s_delay_alu instid0(SALU_CYCLE_1)
	s_and_not1_b32 exec_lo, exec_lo, s30
	s_cbranch_execnz .LBB8_999
; %bb.1000:                             ;   in Loop: Header=BB8_107 Depth=1
	s_set_inst_prefetch_distance 0x2
	s_or_b32 exec_lo, exec_lo, s30
.LBB8_1001:                             ;   in Loop: Header=BB8_107 Depth=1
	s_delay_alu instid0(SALU_CYCLE_1) | instskip(SKIP_4) | instid1(VALU_DEP_2)
	s_or_b32 exec_lo, exec_lo, s16
	v_lshlrev_b32_e32 v12, 11, v37
	v_mov_b32_e32 v38, 0
	s_mov_b32 s15, 0
	s_mov_b32 s30, exec_lo
                                        ; implicit-def: $vgpr37
                                        ; implicit-def: $vgpr98
                                        ; implicit-def: $vgpr101
	v_cmpx_ne_u32_e64 v1, v12
	s_cbranch_execz .LBB8_1010
; %bb.1002:                             ;   in Loop: Header=BB8_107 Depth=1
	v_lshlrev_b32_e32 v10, 5, v99
	v_sub_nc_u32_e32 v37, v1, v12
	s_mov_b32 s31, exec_lo
	s_delay_alu instid0(VALU_DEP_2) | instskip(NEXT) | instid1(VALU_DEP_2)
	v_sub_nc_u32_e32 v10, v53, v10
	v_ashrrev_i32_e32 v13, 31, v37
	s_delay_alu instid0(VALU_DEP_2) | instskip(NEXT) | instid1(VALU_DEP_2)
	v_ashrrev_i32_e32 v11, 31, v10
	v_lshrrev_b32_e32 v13, 23, v13
	s_delay_alu instid0(VALU_DEP_2) | instskip(NEXT) | instid1(VALU_DEP_2)
	v_lshrrev_b32_e32 v11, 27, v11
	v_add_nc_u32_e32 v98, v37, v13
	s_delay_alu instid0(VALU_DEP_2) | instskip(NEXT) | instid1(VALU_DEP_2)
	v_add_nc_u32_e32 v11, v10, v11
	v_and_b32_e32 v13, 0xfffffe00, v98
	v_ashrrev_i32_e32 v98, 9, v98
	s_delay_alu instid0(VALU_DEP_3) | instskip(NEXT) | instid1(VALU_DEP_3)
	v_and_b32_e32 v38, 0xffffffe0, v11
	v_sub_nc_u32_e32 v100, v37, v13
	s_delay_alu instid0(VALU_DEP_2) | instskip(SKIP_1) | instid1(VALU_DEP_3)
	v_sub_nc_u32_e32 v99, v10, v38
	v_ashrrev_i32_e32 v10, 5, v11
	v_cmp_lt_i32_e32 vcc_lo, 15, v100
	s_delay_alu instid0(VALU_DEP_3) | instskip(NEXT) | instid1(VALU_DEP_1)
	v_lshlrev_b32_e32 v11, 4, v99
	v_lshl_add_u32 v38, v10, 9, v11
	v_add_co_ci_u32_e64 v11, s15, 0, v98, vcc_lo
	s_delay_alu instid0(VALU_DEP_2) | instskip(NEXT) | instid1(VALU_DEP_2)
	v_sub_nc_u32_e32 v37, v37, v38
	v_sub_nc_u32_e32 v102, v11, v10
	s_delay_alu instid0(VALU_DEP_2)
	v_cmpx_lt_i32_e32 15, v37
	s_cbranch_execz .LBB8_1007
; %bb.1003:                             ;   in Loop: Header=BB8_107 Depth=1
	s_cbranch_execnz .LBB8_1483
; %bb.1004:                             ;   in Loop: Header=BB8_107 Depth=1
	ds_load_b64 v[10:11], v0
	v_add_nc_u32_e32 v38, v38, v12
	s_mov_b32 s34, 0
	s_delay_alu instid0(VALU_DEP_1)
	v_ashrrev_i32_e32 v98, 31, v38
.LBB8_1005:                             ;   Parent Loop BB8_107 Depth=1
                                        ; =>  This Inner Loop Header: Depth=2
	s_waitcnt lgkmcnt(0)
	v_add_co_u32 v116, s15, v10, v38
	s_delay_alu instid0(VALU_DEP_1)
	v_add_co_ci_u32_e64 v117, s15, v11, v98, s15
	v_sub_nc_u32_e32 v37, v37, v64
	v_add_co_u32 v38, s16, v38, v80
	global_load_b128 v[112:115], v[116:117], off slc dlc
	v_sub_nc_u32_e32 v102, v102, v54
	v_cmp_gt_i32_e64 s15, 16, v37
	v_add_co_ci_u32_e64 v98, s16, v98, v81, s16
	s_delay_alu instid0(VALU_DEP_2)
	s_or_b32 s34, s15, s34
	s_waitcnt vmcnt(0)
	global_store_b128 v[116:117], v[112:115], off glc slc dlc
	s_and_not1_b32 exec_lo, exec_lo, s34
	s_cbranch_execnz .LBB8_1005
; %bb.1006:                             ;   in Loop: Header=BB8_107 Depth=1
	s_or_b32 exec_lo, exec_lo, s34
.LBB8_1007:                             ;   in Loop: Header=BB8_107 Depth=1
	s_delay_alu instid0(SALU_CYCLE_1) | instskip(SKIP_3) | instid1(VALU_DEP_1)
	s_or_b32 exec_lo, exec_lo, s31
	v_and_b32_e32 v10, 15, v1
	s_mov_b32 s16, 0
	s_mov_b32 s31, exec_lo
                                        ; implicit-def: $vgpr98
                                        ; implicit-def: $vgpr101
	v_dual_mov_b32 v38, 0 :: v_dual_cndmask_b32 v37, v100, v10
	s_delay_alu instid0(VALU_DEP_1)
	v_cmpx_ne_u32_e32 0, v37
; %bb.1008:                             ;   in Loop: Header=BB8_107 Depth=1
	v_cmp_lt_i32_e64 s15, 0, v102
	v_sub_nc_u32_e32 v10, v100, v10
	s_mov_b32 s16, exec_lo
	s_delay_alu instid0(VALU_DEP_2) | instskip(NEXT) | instid1(VALU_DEP_1)
	v_cndmask_b32_e64 v11, 0, v54, s15
	v_sub_nc_u32_e32 v11, v11, v102
	s_delay_alu instid0(VALU_DEP_1) | instskip(NEXT) | instid1(VALU_DEP_1)
	v_lshl_add_u32 v98, v11, 5, v99
	v_ashrrev_i32_e32 v11, 31, v98
	s_delay_alu instid0(VALU_DEP_1) | instskip(NEXT) | instid1(VALU_DEP_1)
	v_lshrrev_b32_e32 v11, 27, v11
	v_dual_cndmask_b32 v10, 0, v10 :: v_dual_add_nc_u32 v11, v98, v11
	s_delay_alu instid0(VALU_DEP_1) | instskip(NEXT) | instid1(VALU_DEP_2)
	v_add3_u32 v38, v13, v12, v10
	v_ashrrev_i32_e32 v101, 5, v11
; %bb.1009:                             ;   in Loop: Header=BB8_107 Depth=1
	s_or_b32 exec_lo, exec_lo, s31
	s_delay_alu instid0(SALU_CYCLE_1)
	s_and_b32 s15, s16, exec_lo
.LBB8_1010:                             ;   in Loop: Header=BB8_107 Depth=1
	s_or_b32 exec_lo, exec_lo, s30
.LBB8_1011:                             ;   in Loop: Header=BB8_107 Depth=1
	s_and_saveexec_b32 s16, s15
	s_cbranch_execz .LBB8_1022
; %bb.1012:                             ;   in Loop: Header=BB8_107 Depth=1
	s_delay_alu instid0(VALU_DEP_1) | instskip(SKIP_1) | instid1(VALU_DEP_1)
	v_ashrrev_i32_e32 v10, 31, v37
	s_mov_b32 s15, exec_lo
	v_lshrrev_b32_e32 v10, 23, v10
	s_delay_alu instid0(VALU_DEP_1) | instskip(NEXT) | instid1(VALU_DEP_1)
	v_add_nc_u32_e32 v10, v37, v10
	v_ashrrev_i32_e32 v100, 9, v10
	s_delay_alu instid0(VALU_DEP_1) | instskip(NEXT) | instid1(VALU_DEP_1)
	v_sub_nc_u32_e32 v99, v100, v101
	v_cmpx_lt_i32_e32 0, v99
	s_cbranch_execz .LBB8_1017
; %bb.1013:                             ;   in Loop: Header=BB8_107 Depth=1
	s_cbranch_execnz .LBB8_1378
; %bb.1014:                             ;   in Loop: Header=BB8_107 Depth=1
	v_ashrrev_i32_e32 v10, 31, v98
	s_mov_b32 s30, 0
	s_delay_alu instid0(VALU_DEP_1) | instskip(NEXT) | instid1(VALU_DEP_1)
	v_lshrrev_b32_e32 v10, 27, v10
	v_add_nc_u32_e32 v12, v98, v10
	ds_load_b64 v[10:11], v0
	v_lshlrev_b32_e32 v13, 9, v101
	v_and_b32_e32 v12, 0xffffffe0, v12
	s_delay_alu instid0(VALU_DEP_1) | instskip(NEXT) | instid1(VALU_DEP_1)
	v_sub_nc_u32_e32 v12, v98, v12
	v_add3_u32 v101, v38, v12, v13
	s_delay_alu instid0(VALU_DEP_1)
	v_ashrrev_i32_e32 v102, 31, v101
	s_waitcnt lgkmcnt(0)
	v_dual_mov_b32 v13, v11 :: v_dual_mov_b32 v12, v10
.LBB8_1015:                             ;   Parent Loop BB8_107 Depth=1
                                        ; =>  This Inner Loop Header: Depth=2
	s_delay_alu instid0(VALU_DEP_1) | instskip(NEXT) | instid1(VALU_DEP_2)
	v_add_co_u32 v112, vcc_lo, v101, v12
	v_add_co_ci_u32_e32 v113, vcc_lo, v102, v13, vcc_lo
	v_sub_nc_u32_e32 v99, v99, v54
	s_clause 0xf
	flat_load_u8 v103, v[112:113] slc dlc
	flat_load_u8 v114, v[112:113] offset:32 slc dlc
	flat_load_u8 v115, v[112:113] offset:64 slc dlc
	;; [unrolled: 1-line block ×15, first 2 shown]
	v_add_co_u32 v112, vcc_lo, v101, v10
	v_add_co_ci_u32_e32 v113, vcc_lo, v102, v11, vcc_lo
	v_add_co_u32 v12, vcc_lo, v12, v80
	v_add_co_ci_u32_e32 v13, vcc_lo, v13, v81, vcc_lo
	;; [unrolled: 2-line block ×3, first 2 shown]
	v_cmp_gt_i32_e32 vcc_lo, 1, v99
	s_waitcnt vmcnt(15) lgkmcnt(15)
	flat_store_b8 v[112:113], v103 glc slc dlc
	s_waitcnt vmcnt(14) lgkmcnt(15)
	flat_store_b8 v[112:113], v114 offset:32 glc slc dlc
	s_waitcnt vmcnt(13) lgkmcnt(15)
	flat_store_b8 v[112:113], v115 offset:64 glc slc dlc
	;; [unrolled: 2-line block ×15, first 2 shown]
	s_or_b32 s30, vcc_lo, s30
	s_delay_alu instid0(SALU_CYCLE_1)
	s_and_not1_b32 exec_lo, exec_lo, s30
	s_cbranch_execnz .LBB8_1015
; %bb.1016:                             ;   in Loop: Header=BB8_107 Depth=1
	s_or_b32 exec_lo, exec_lo, s30
.LBB8_1017:                             ;   in Loop: Header=BB8_107 Depth=1
	s_delay_alu instid0(SALU_CYCLE_1) | instskip(SKIP_1) | instid1(VALU_DEP_1)
	s_or_b32 exec_lo, exec_lo, s15
	v_lshlrev_b32_e32 v10, 9, v100
	v_cmp_ne_u32_e32 vcc_lo, v37, v10
	s_and_b32 exec_lo, exec_lo, vcc_lo
	s_cbranch_execz .LBB8_1022
; %bb.1018:                             ;   in Loop: Header=BB8_107 Depth=1
	v_ashrrev_i32_e32 v11, 31, v98
	v_lshlrev_b32_e32 v12, 5, v99
	s_delay_alu instid0(VALU_DEP_2) | instskip(NEXT) | instid1(VALU_DEP_1)
	v_lshrrev_b32_e32 v11, 27, v11
	v_add_nc_u32_e32 v11, v98, v11
	s_delay_alu instid0(VALU_DEP_1) | instskip(NEXT) | instid1(VALU_DEP_1)
	v_and_b32_e32 v11, 0xffffffe0, v11
	v_sub_nc_u32_e32 v11, v98, v11
	s_delay_alu instid0(VALU_DEP_1) | instskip(NEXT) | instid1(VALU_DEP_1)
	v_sub_nc_u32_e32 v11, v11, v12
	v_add_nc_u32_e32 v13, v10, v11
	s_delay_alu instid0(VALU_DEP_1) | instskip(NEXT) | instid1(VALU_DEP_1)
	v_sub_nc_u32_e32 v12, v37, v13
	v_cmp_lt_i32_e32 vcc_lo, 0, v12
	s_and_b32 exec_lo, exec_lo, vcc_lo
	s_cbranch_execz .LBB8_1022
; %bb.1019:                             ;   in Loop: Header=BB8_107 Depth=1
	s_cbranch_execnz .LBB8_1481
; %bb.1020:                             ;   in Loop: Header=BB8_107 Depth=1
	ds_load_b64 v[10:11], v0
	v_add_nc_u32_e32 v13, v13, v38
	s_mov_b32 s30, 0
	s_delay_alu instid0(VALU_DEP_1)
	v_ashrrev_i32_e32 v37, 31, v13
.LBB8_1021:                             ;   Parent Loop BB8_107 Depth=1
                                        ; =>  This Inner Loop Header: Depth=2
	s_waitcnt lgkmcnt(0)
	v_add_co_u32 v98, vcc_lo, v10, v13
	s_delay_alu instid0(VALU_DEP_2)
	v_add_co_ci_u32_e32 v99, vcc_lo, v11, v37, vcc_lo
	v_sub_nc_u32_e32 v12, v12, v67
	v_add_co_u32 v13, s15, v13, v84
	flat_load_u8 v38, v[98:99] slc dlc
	v_add_co_ci_u32_e64 v37, s15, v37, v85, s15
	v_cmp_gt_i32_e32 vcc_lo, 1, v12
	s_or_b32 s30, vcc_lo, s30
	s_waitcnt vmcnt(0) lgkmcnt(0)
	flat_store_b8 v[98:99], v38 glc slc dlc
	s_and_not1_b32 exec_lo, exec_lo, s30
	s_cbranch_execnz .LBB8_1021
.LBB8_1022:                             ;   in Loop: Header=BB8_107 Depth=1
	s_or_b32 exec_lo, exec_lo, s16
	v_cmp_lt_i32_e64 s15, 0, v1
.LBB8_1023:                             ;   in Loop: Header=BB8_107 Depth=1
	s_and_saveexec_b32 s16, s3
	s_cbranch_execz .LBB8_1045
; %bb.1024:                             ;   in Loop: Header=BB8_107 Depth=1
	s_and_saveexec_b32 vcc_lo, s4
	s_delay_alu instid0(SALU_CYCLE_1)
	s_xor_b32 s30, exec_lo, vcc_lo
	s_cbranch_execz .LBB8_1042
; %bb.1025:                             ;   in Loop: Header=BB8_107 Depth=1
	s_and_saveexec_b32 s31, s5
	s_cbranch_execz .LBB8_1041
; %bb.1026:                             ;   in Loop: Header=BB8_107 Depth=1
	s_mov_b32 s35, exec_lo
	s_mov_b32 s34, exec_lo
	v_mbcnt_lo_u32_b32 v1, s35, 0
	s_waitcnt lgkmcnt(0)
	s_waitcnt_vscnt null, 0x0
	buffer_gl1_inv
	buffer_gl0_inv
	v_cmpx_eq_u32_e32 0, v1
	s_cbranch_execz .LBB8_1028
; %bb.1027:                             ;   in Loop: Header=BB8_107 Depth=1
	s_bcnt1_i32_b32 vcc_lo, s35
	s_delay_alu instid0(SALU_CYCLE_1)
	v_mov_b32_e32 v1, vcc_lo
	ds_add_u64 v0, v[1:2]
	s_cbranch_execnz .LBB8_1465
.LBB8_1028:                             ;   in Loop: Header=BB8_107 Depth=1
	s_or_b32 exec_lo, exec_lo, s34
	s_cbranch_execnz .LBB8_1408
; %bb.1029:                             ;   in Loop: Header=BB8_107 Depth=1
	ds_load_b64 v[10:11], v0
	v_add_co_u32 v24, vcc_lo, v24, v54
	v_add_co_ci_u32_e32 v25, vcc_lo, 0, v25, vcc_lo
	s_mov_b32 s34, exec_lo
	s_waitcnt lgkmcnt(0)
	s_delay_alu instid0(VALU_DEP_1)
	v_cmpx_lt_u64_e64 v[10:11], v[24:25]
	s_cbranch_execz .LBB8_1040
; %bb.1030:                             ;   in Loop: Header=BB8_107 Depth=1
	s_mov_b32 s35, 0
	s_mov_b32 s38, 0
                                        ; implicit-def: $sgpr36
                                        ; implicit-def: $sgpr37
	s_branch .LBB8_1032
.LBB8_1031:                             ;   in Loop: Header=BB8_1032 Depth=2
	s_or_b32 exec_lo, exec_lo, s40
	s_delay_alu instid0(SALU_CYCLE_1) | instskip(NEXT) | instid1(SALU_CYCLE_1)
	s_and_b32 vcc_lo, exec_lo, vcc_lo
	s_or_b32 s35, vcc_lo, s35
	s_and_not1_b32 vcc_lo, s36, exec_lo
	s_and_b32 s36, s37, exec_lo
	s_delay_alu instid0(SALU_CYCLE_1)
	s_or_b32 s36, vcc_lo, s36
	s_and_not1_b32 exec_lo, exec_lo, s35
	s_cbranch_execz .LBB8_1038
.LBB8_1032:                             ;   Parent Loop BB8_107 Depth=1
                                        ; =>  This Inner Loop Header: Depth=2
	s_add_i32 s38, s38, 1
                                        ; implicit-def: $sgpr40
	s_delay_alu instid0(SALU_CYCLE_1) | instskip(SKIP_1) | instid1(SALU_CYCLE_1)
	s_cmpk_lg_i32 s38, 0x2710
	s_cselect_b32 s39, -1, 0
	s_and_b32 vcc_lo, exec_lo, s39
	s_cbranch_vccz .LBB8_1036
.LBB8_1033:                             ;   in Loop: Header=BB8_1032 Depth=2
	s_and_not1_b32 s37, s37, exec_lo
	s_and_b32 s40, s40, exec_lo
	s_mov_b32 vcc_lo, -1
	s_or_b32 s37, s37, s40
	s_and_saveexec_b32 s40, s39
	s_cbranch_execz .LBB8_1031
; %bb.1034:                             ;   in Loop: Header=BB8_1032 Depth=2
	s_sleep 1
	s_cbranch_execnz .LBB8_1507
; %bb.1035:                             ;   in Loop: Header=BB8_1032 Depth=2
	ds_load_b64 v[10:11], v0
	s_and_not1_b32 s37, s37, exec_lo
	s_waitcnt lgkmcnt(0)
	v_cmp_ge_u64_e32 vcc_lo, v[10:11], v[24:25]
	s_or_not1_b32 vcc_lo, vcc_lo, exec_lo
	s_branch .LBB8_1031
.LBB8_1036:                             ;   in Loop: Header=BB8_1032 Depth=2
	s_cbranch_execnz .LBB8_1527
; %bb.1037:                             ;   in Loop: Header=BB8_1032 Depth=2
	ds_load_b64 v[10:11], v0
	s_and_not1_b32 s39, s39, exec_lo
	s_mov_b32 s38, 0
	s_mov_b32 s40, -1
	s_waitcnt lgkmcnt(0)
	flat_load_b32 v1, v[10:11] glc
	s_waitcnt vmcnt(0) lgkmcnt(0)
	buffer_gl1_inv
	buffer_gl0_inv
	v_cmp_eq_u32_e32 vcc_lo, 0, v1
	s_and_b32 vcc_lo, vcc_lo, exec_lo
	s_delay_alu instid0(SALU_CYCLE_1)
	s_or_b32 s39, s39, vcc_lo
	s_branch .LBB8_1033
.LBB8_1038:                             ;   in Loop: Header=BB8_107 Depth=1
	s_or_b32 exec_lo, exec_lo, s35
	s_and_saveexec_b32 vcc_lo, s36
	s_delay_alu instid0(SALU_CYCLE_1)
	s_xor_b32 vcc_lo, exec_lo, vcc_lo
	s_cbranch_execz .LBB8_1040
; %bb.1039:                             ;   in Loop: Header=BB8_107 Depth=1
	ds_store_b32 v0, v97
	s_cbranch_execnz .LBB8_1587
.LBB8_1040:                             ;   in Loop: Header=BB8_107 Depth=1
	s_or_b32 exec_lo, exec_lo, s34
	;;#ASMSTART
	s_wakeup
	;;#ASMEND
.LBB8_1041:                             ;   in Loop: Header=BB8_107 Depth=1
	s_or_b32 exec_lo, exec_lo, s31
.LBB8_1042:                             ;   in Loop: Header=BB8_107 Depth=1
	s_and_not1_saveexec_b32 vcc_lo, s30
	s_cbranch_execz .LBB8_1044
; %bb.1043:                             ;   in Loop: Header=BB8_107 Depth=1
	s_waitcnt lgkmcnt(0)
	s_waitcnt_vscnt null, 0x0
	buffer_gl1_inv
	buffer_gl0_inv
	s_barrier
.LBB8_1044:                             ;   in Loop: Header=BB8_107 Depth=1
	s_or_b32 exec_lo, exec_lo, vcc_lo
.LBB8_1045:                             ;   in Loop: Header=BB8_107 Depth=1
	s_delay_alu instid0(SALU_CYCLE_1) | instskip(SKIP_1) | instid1(SALU_CYCLE_1)
	s_or_b32 exec_lo, exec_lo, s16
                                        ; implicit-def: $vgpr1
	s_and_saveexec_b32 s16, s11
	s_xor_b32 s16, exec_lo, s16
	s_cbranch_execz .LBB8_1049
; %bb.1046:                             ;   in Loop: Header=BB8_107 Depth=1
	v_and_b32_e32 v1, 16, v48
	s_delay_alu instid0(VALU_DEP_1) | instskip(SKIP_2) | instid1(SALU_CYCLE_1)
	v_cmp_ne_u32_e32 vcc_lo, 0, v1
	v_and_b32_e32 v1, 16, v48
	s_and_b32 vcc_lo, vcc_lo, s15
	s_and_saveexec_b32 s15, vcc_lo
	s_cbranch_execz .LBB8_1048
; %bb.1047:                             ;   in Loop: Header=BB8_107 Depth=1
	v_mov_b32_e32 v1, 1
	s_waitcnt lgkmcnt(0)
	s_waitcnt_vscnt null, 0x0
	buffer_gl1_inv
	buffer_gl0_inv
.LBB8_1048:                             ;   in Loop: Header=BB8_107 Depth=1
	s_or_b32 exec_lo, exec_lo, s15
.LBB8_1049:                             ;   in Loop: Header=BB8_107 Depth=1
	s_and_not1_saveexec_b32 s15, s16
	s_cbranch_execz .LBB8_1071
; %bb.1050:                             ;   in Loop: Header=BB8_107 Depth=1
	s_and_saveexec_b32 s16, s4
	s_delay_alu instid0(SALU_CYCLE_1)
	s_xor_b32 s16, exec_lo, s16
	s_cbranch_execz .LBB8_1068
; %bb.1051:                             ;   in Loop: Header=BB8_107 Depth=1
	s_and_saveexec_b32 s30, s5
	s_cbranch_execz .LBB8_1067
; %bb.1052:                             ;   in Loop: Header=BB8_107 Depth=1
	s_mov_b32 s34, exec_lo
	s_mov_b32 s31, exec_lo
	v_mbcnt_lo_u32_b32 v1, s34, 0
	;;#ASMSTART
	s_waitcnt lgkmcnt(0) vmcnt(0)
	;;#ASMEND
	s_delay_alu instid0(VALU_DEP_1)
	v_cmpx_eq_u32_e32 0, v1
	s_cbranch_execz .LBB8_1054
; %bb.1053:                             ;   in Loop: Header=BB8_107 Depth=1
	s_bcnt1_i32_b32 vcc_lo, s34
	s_delay_alu instid0(SALU_CYCLE_1)
	v_mov_b32_e32 v1, vcc_lo
	ds_add_u64 v0, v[1:2]
	s_cbranch_execnz .LBB8_1471
.LBB8_1054:                             ;   in Loop: Header=BB8_107 Depth=1
	s_or_b32 exec_lo, exec_lo, s31
	s_cbranch_execnz .LBB8_1420
; %bb.1055:                             ;   in Loop: Header=BB8_107 Depth=1
	ds_load_b64 v[10:11], v0
	v_add_co_u32 v24, vcc_lo, v24, v54
	v_add_co_ci_u32_e32 v25, vcc_lo, 0, v25, vcc_lo
	s_mov_b32 s31, exec_lo
	s_waitcnt lgkmcnt(0)
	s_delay_alu instid0(VALU_DEP_1)
	v_cmpx_lt_u64_e64 v[10:11], v[24:25]
	s_cbranch_execz .LBB8_1066
; %bb.1056:                             ;   in Loop: Header=BB8_107 Depth=1
	s_mov_b32 s34, 0
	s_mov_b32 s37, 0
                                        ; implicit-def: $sgpr35
                                        ; implicit-def: $sgpr36
	s_branch .LBB8_1058
.LBB8_1057:                             ;   in Loop: Header=BB8_1058 Depth=2
	s_or_b32 exec_lo, exec_lo, s39
	s_delay_alu instid0(SALU_CYCLE_1) | instskip(NEXT) | instid1(SALU_CYCLE_1)
	s_and_b32 vcc_lo, exec_lo, vcc_lo
	s_or_b32 s34, vcc_lo, s34
	s_and_not1_b32 vcc_lo, s35, exec_lo
	s_and_b32 s35, s36, exec_lo
	s_delay_alu instid0(SALU_CYCLE_1)
	s_or_b32 s35, vcc_lo, s35
	s_and_not1_b32 exec_lo, exec_lo, s34
	s_cbranch_execz .LBB8_1064
.LBB8_1058:                             ;   Parent Loop BB8_107 Depth=1
                                        ; =>  This Inner Loop Header: Depth=2
	s_add_i32 s37, s37, 1
                                        ; implicit-def: $sgpr39
	s_delay_alu instid0(SALU_CYCLE_1) | instskip(SKIP_1) | instid1(SALU_CYCLE_1)
	s_cmpk_lg_i32 s37, 0x2710
	s_cselect_b32 s38, -1, 0
	s_and_b32 vcc_lo, exec_lo, s38
	s_cbranch_vccz .LBB8_1062
.LBB8_1059:                             ;   in Loop: Header=BB8_1058 Depth=2
	s_and_not1_b32 s36, s36, exec_lo
	s_and_b32 s39, s39, exec_lo
	s_mov_b32 vcc_lo, -1
	s_or_b32 s36, s36, s39
	s_and_saveexec_b32 s39, s38
	s_cbranch_execz .LBB8_1057
; %bb.1060:                             ;   in Loop: Header=BB8_1058 Depth=2
	s_sleep 1
	s_cbranch_execnz .LBB8_1515
; %bb.1061:                             ;   in Loop: Header=BB8_1058 Depth=2
	ds_load_b64 v[10:11], v0
	s_and_not1_b32 s36, s36, exec_lo
	s_waitcnt lgkmcnt(0)
	v_cmp_ge_u64_e32 vcc_lo, v[10:11], v[24:25]
	s_or_not1_b32 vcc_lo, vcc_lo, exec_lo
	s_branch .LBB8_1057
.LBB8_1062:                             ;   in Loop: Header=BB8_1058 Depth=2
	s_cbranch_execnz .LBB8_1533
; %bb.1063:                             ;   in Loop: Header=BB8_1058 Depth=2
	ds_load_b64 v[10:11], v0
	s_and_not1_b32 s38, s38, exec_lo
	s_mov_b32 s37, 0
	s_mov_b32 s39, -1
	s_waitcnt lgkmcnt(0)
	s_waitcnt_vscnt null, 0x0
	flat_load_b32 v1, v[10:11] glc
	s_waitcnt vmcnt(0) lgkmcnt(0)
	buffer_gl1_inv
	buffer_gl0_inv
	v_cmp_eq_u32_e32 vcc_lo, 0, v1
	s_and_b32 vcc_lo, vcc_lo, exec_lo
	s_delay_alu instid0(SALU_CYCLE_1)
	s_or_b32 s38, s38, vcc_lo
	s_branch .LBB8_1059
.LBB8_1064:                             ;   in Loop: Header=BB8_107 Depth=1
	s_or_b32 exec_lo, exec_lo, s34
	s_and_saveexec_b32 vcc_lo, s35
	s_delay_alu instid0(SALU_CYCLE_1)
	s_xor_b32 vcc_lo, exec_lo, vcc_lo
	s_cbranch_execz .LBB8_1066
; %bb.1065:                             ;   in Loop: Header=BB8_107 Depth=1
	ds_store_b32 v0, v97
	s_cbranch_execnz .LBB8_1589
.LBB8_1066:                             ;   in Loop: Header=BB8_107 Depth=1
	s_or_b32 exec_lo, exec_lo, s31
	;;#ASMSTART
	s_wakeup
	;;#ASMEND
.LBB8_1067:                             ;   in Loop: Header=BB8_107 Depth=1
	s_or_b32 exec_lo, exec_lo, s30
.LBB8_1068:                             ;   in Loop: Header=BB8_107 Depth=1
	s_and_not1_saveexec_b32 s16, s16
	s_cbranch_execz .LBB8_1070
; %bb.1069:                             ;   in Loop: Header=BB8_107 Depth=1
	;;#ASMSTART
	s_waitcnt lgkmcnt(0) vmcnt(0)
	;;#ASMEND
	s_waitcnt lgkmcnt(0)
	s_waitcnt_vscnt null, 0x0
	s_barrier
.LBB8_1070:                             ;   in Loop: Header=BB8_107 Depth=1
	s_or_b32 exec_lo, exec_lo, s16
	v_and_b32_e32 v1, 16, v48
.LBB8_1071:                             ;   in Loop: Header=BB8_107 Depth=1
	s_or_b32 exec_lo, exec_lo, s15
	s_delay_alu instid0(SALU_CYCLE_1) | instskip(NEXT) | instid1(VALU_DEP_1)
	s_mov_b32 s15, exec_lo
	v_cmpx_ne_u32_e32 0, v1
	s_cbranch_execz .LBB8_1075
; %bb.1072:                             ;   in Loop: Header=BB8_107 Depth=1
	s_and_saveexec_b32 s16, s13
	s_cbranch_execz .LBB8_1074
; %bb.1073:                             ;   in Loop: Header=BB8_107 Depth=1
	s_waitcnt lgkmcnt(0)
	s_waitcnt_vscnt null, 0x0
	flat_store_b32 v[26:27], v97
.LBB8_1074:                             ;   in Loop: Header=BB8_107 Depth=1
	s_or_b32 exec_lo, exec_lo, s16
	v_add_co_u32 v8, vcc_lo, v8, 1
	v_add_co_ci_u32_e32 v9, vcc_lo, 0, v9, vcc_lo
	s_waitcnt lgkmcnt(0)
	s_waitcnt_vscnt null, 0x0
	flat_store_b64 v[20:21], v[8:9]
.LBB8_1075:                             ;   in Loop: Header=BB8_107 Depth=1
	s_or_b32 exec_lo, exec_lo, s15
	v_mov_b32_e32 v12, v36
.LBB8_1076:                             ;   in Loop: Header=BB8_107 Depth=1
	s_or_b32 exec_lo, exec_lo, vcc_hi
	s_mov_b32 s16, s18
	s_mov_b32 vcc_lo, s17
	s_and_saveexec_b32 s15, s14
	s_cbranch_execz .LBB8_1153
; %bb.1077:                             ;   in Loop: Header=BB8_107 Depth=1
	v_and_b32_e32 v1, 8, v48
	s_mov_b32 s16, -1
	s_mov_b32 s14, exec_lo
	s_delay_alu instid0(VALU_DEP_1)
	v_cmpx_ne_u32_e32 0, v1
	s_cbranch_execz .LBB8_1091
; %bb.1078:                             ;   in Loop: Header=BB8_107 Depth=1
	v_add_co_u32 v37, vcc_lo, v28, 8
	v_add_co_ci_u32_e32 v38, vcc_lo, 0, v29, vcc_lo
	v_add_co_u32 v10, vcc_lo, v8, 1
	v_add_co_ci_u32_e32 v11, vcc_lo, 0, v9, vcc_lo
	v_mov_b32_e32 v1, 1
	s_mov_b32 s16, exec_lo
	s_delay_alu instid0(VALU_DEP_2)
	v_cmpx_lt_u64_e64 v[37:38], v[10:11]
	s_cbranch_execz .LBB8_1090
; %bb.1079:                             ;   in Loop: Header=BB8_107 Depth=1
	v_mov_b32_e32 v1, 0
	s_mov_b32 vcc_hi, 0
                                        ; implicit-def: $sgpr30
	s_branch .LBB8_1083
.LBB8_1080:                             ;   in Loop: Header=BB8_1083 Depth=2
	s_or_b32 exec_lo, exec_lo, s36
	v_mov_b32_e32 v13, 0
	s_or_not1_b32 s35, s35, exec_lo
.LBB8_1081:                             ;   in Loop: Header=BB8_1083 Depth=2
	s_or_b32 exec_lo, exec_lo, s34
	s_delay_alu instid0(VALU_DEP_1) | instskip(SKIP_2) | instid1(SALU_CYCLE_1)
	v_mov_b32_e32 v1, v13
	s_and_not1_b32 vcc_lo, s30, exec_lo
	s_and_b32 s30, s35, exec_lo
	s_or_b32 s30, vcc_lo, s30
.LBB8_1082:                             ;   in Loop: Header=BB8_1083 Depth=2
	s_or_b32 exec_lo, exec_lo, s31
	s_waitcnt vmcnt(0) lgkmcnt(0)
	v_add_co_u32 v37, vcc_lo, v28, 8
	v_add_co_ci_u32_e32 v38, vcc_lo, 0, v29, vcc_lo
	s_xor_b32 s31, s30, -1
	s_delay_alu instid0(VALU_DEP_1) | instskip(SKIP_1) | instid1(SALU_CYCLE_1)
	v_cmp_ge_u64_e32 vcc_lo, v[37:38], v[10:11]
	s_or_b32 vcc_lo, s31, vcc_lo
	s_and_b32 vcc_lo, exec_lo, vcc_lo
	s_delay_alu instid0(SALU_CYCLE_1) | instskip(NEXT) | instid1(SALU_CYCLE_1)
	s_or_b32 vcc_hi, vcc_lo, vcc_hi
	s_and_not1_b32 exec_lo, exec_lo, vcc_hi
	s_cbranch_execz .LBB8_1089
.LBB8_1083:                             ;   Parent Loop BB8_107 Depth=1
                                        ; =>  This Inner Loop Header: Depth=2
	s_sleep 1
	flat_load_b64 v[28:29], v[20:21] glc
	v_and_b32_e32 v13, 64, v48
	s_and_not1_b32 s30, s30, exec_lo
	s_mov_b32 s31, exec_lo
	s_delay_alu instid0(VALU_DEP_1)
	v_cmpx_eq_u32_e32 0, v13
	s_cbranch_execz .LBB8_1082
; %bb.1084:                             ;   in Loop: Header=BB8_1083 Depth=2
	v_add_nc_u32_e32 v13, 1, v1
	s_mov_b32 s35, -1
	s_mov_b32 s34, exec_lo
	v_cmpx_lt_i32_e32 0x270e, v1
	s_cbranch_execz .LBB8_1081
; %bb.1085:                             ;   in Loop: Header=BB8_1083 Depth=2
	s_cbranch_execnz .LBB8_1262
; %bb.1086:                             ;   in Loop: Header=BB8_1083 Depth=2
	ds_load_b64 v[37:38], v0
	s_mov_b32 s36, exec_lo
	s_waitcnt vmcnt(0) lgkmcnt(0)
	s_waitcnt_vscnt null, 0x0
	flat_load_b32 v1, v[37:38] glc
	s_waitcnt vmcnt(0) lgkmcnt(0)
	buffer_gl1_inv
	buffer_gl0_inv
	v_cmpx_ne_u32_e32 0, v1
	s_cbranch_execz .LBB8_1080
; %bb.1087:                             ;   in Loop: Header=BB8_1083 Depth=2
	ds_store_b32 v0, v1
	s_cbranch_execnz .LBB8_1308
; %bb.1088:                             ;   in Loop: Header=BB8_1083 Depth=2
	v_or_b32_e32 v48, 64, v48
	s_xor_b32 s35, exec_lo, -1
	s_branch .LBB8_1080
.LBB8_1089:                             ;   in Loop: Header=BB8_107 Depth=1
	s_or_b32 exec_lo, exec_lo, vcc_hi
	v_and_b32_e32 v1, 8, v48
.LBB8_1090:                             ;   in Loop: Header=BB8_107 Depth=1
	s_or_b32 exec_lo, exec_lo, s16
	s_delay_alu instid0(VALU_DEP_1)
	v_cmp_eq_u32_e32 vcc_lo, 0, v1
	;;#ASMSTART
	s_wakeup
	;;#ASMEND
	s_or_not1_b32 s16, vcc_lo, exec_lo
.LBB8_1091:                             ;   in Loop: Header=BB8_107 Depth=1
	s_or_b32 exec_lo, exec_lo, s14
	v_sub_nc_u32_e32 v1, v39, v12
	s_xor_b32 s14, s16, -1
	s_delay_alu instid0(VALU_DEP_1)
	v_min_i32_e32 v10, v36, v1
	s_and_saveexec_b32 s16, s14
	s_cbranch_execz .LBB8_1101
; %bb.1092:                             ;   in Loop: Header=BB8_107 Depth=1
	v_and_b32_e32 v1, 0x100, v48
	s_mov_b32 s14, -1
                                        ; implicit-def: $vgpr11_vgpr12
	s_delay_alu instid0(VALU_DEP_1)
	v_cmp_ne_u32_e32 vcc_lo, 0, v1
	v_and_b32_e32 v1, 7, v8
	s_and_saveexec_b32 vcc_hi, vcc_lo
	s_cbranch_execz .LBB8_1096
; %bb.1093:                             ;   in Loop: Header=BB8_107 Depth=1
	s_delay_alu instid0(VALU_DEP_1)
	v_mad_u64_u32 v[36:37], null, v1, 24, v[6:7]
	v_ashrrev_i32_e32 v11, 31, v10
	flat_load_b32 v12, v[36:37]
	flat_store_b64 v[36:37], v[10:11] offset:8
	s_waitcnt vmcnt(0) lgkmcnt(1)
	v_cmp_ne_u32_e32 vcc_lo, 1, v12
	v_cmp_eq_u32_e64 s14, 1, v12
                                        ; implicit-def: $vgpr11_vgpr12
	s_delay_alu instid0(VALU_DEP_1)
	s_and_saveexec_b32 s30, s14
	s_cbranch_execz .LBB8_1095
; %bb.1094:                             ;   in Loop: Header=BB8_107 Depth=1
	flat_load_b32 v11, v[36:37] offset:4 glc
	s_waitcnt vmcnt(0) lgkmcnt(0)
	v_ashrrev_i32_e32 v12, 31, v11
.LBB8_1095:                             ;   in Loop: Header=BB8_107 Depth=1
	s_or_b32 exec_lo, exec_lo, s30
	s_delay_alu instid0(SALU_CYCLE_1)
	s_or_not1_b32 s14, vcc_lo, exec_lo
.LBB8_1096:                             ;   in Loop: Header=BB8_107 Depth=1
	s_or_b32 exec_lo, exec_lo, vcc_hi
	s_and_saveexec_b32 vcc_lo, s14
; %bb.1097:                             ;   in Loop: Header=BB8_107 Depth=1
	v_mad_i64_i32 v[11:12], null, v1, v49, 0
; %bb.1098:                             ;   in Loop: Header=BB8_107 Depth=1
	s_or_b32 exec_lo, exec_lo, vcc_lo
	s_delay_alu instid0(VALU_DEP_1) | instskip(SKIP_1) | instid1(VALU_DEP_3)
	v_add_co_u32 v11, vcc_lo, v22, v11
	v_and_b32_e32 v1, 0x2000, v48
	v_add_co_ci_u32_e32 v12, vcc_lo, v23, v12, vcc_lo
	s_mov_b32 s14, exec_lo
	ds_store_b64 v0, v[11:12] offset:784
	v_cmpx_ne_u32_e32 0, v1
	s_cbranch_execz .LBB8_1100
; %bb.1099:                             ;   in Loop: Header=BB8_107 Depth=1
	ds_load_b64 v[11:12], v0 offset:584
	s_waitcnt lgkmcnt(0)
	v_add_co_u32 v11, vcc_lo, v11, 1
	v_add_co_ci_u32_e32 v12, vcc_lo, 0, v12, vcc_lo
	ds_store_b64 v0, v[11:12] offset:584
.LBB8_1100:                             ;   in Loop: Header=BB8_107 Depth=1
	s_or_b32 exec_lo, exec_lo, s14
	v_add_co_u32 v8, vcc_lo, v8, 1
	v_add_co_ci_u32_e32 v9, vcc_lo, 0, v9, vcc_lo
.LBB8_1101:                             ;   in Loop: Header=BB8_107 Depth=1
	s_or_b32 exec_lo, exec_lo, s16
	s_and_saveexec_b32 s14, s3
	s_cbranch_execz .LBB8_1123
; %bb.1102:                             ;   in Loop: Header=BB8_107 Depth=1
	s_and_saveexec_b32 s16, s4
	s_delay_alu instid0(SALU_CYCLE_1)
	s_xor_b32 s16, exec_lo, s16
	s_cbranch_execz .LBB8_1120
; %bb.1103:                             ;   in Loop: Header=BB8_107 Depth=1
	s_and_saveexec_b32 vcc_hi, s5
	s_cbranch_execz .LBB8_1119
; %bb.1104:                             ;   in Loop: Header=BB8_107 Depth=1
	s_mov_b32 s31, exec_lo
	s_mov_b32 s30, exec_lo
	v_mbcnt_lo_u32_b32 v1, s31, 0
	s_waitcnt lgkmcnt(0)
	s_waitcnt_vscnt null, 0x0
	buffer_gl1_inv
	buffer_gl0_inv
	v_cmpx_eq_u32_e32 0, v1
	s_cbranch_execz .LBB8_1106
; %bb.1105:                             ;   in Loop: Header=BB8_107 Depth=1
	s_bcnt1_i32_b32 vcc_lo, s31
	s_delay_alu instid0(SALU_CYCLE_1)
	v_mov_b32_e32 v1, vcc_lo
	ds_add_u64 v0, v[1:2]
	s_cbranch_execnz .LBB8_1334
.LBB8_1106:                             ;   in Loop: Header=BB8_107 Depth=1
	s_or_b32 exec_lo, exec_lo, s30
	s_cbranch_execnz .LBB8_1310
; %bb.1107:                             ;   in Loop: Header=BB8_107 Depth=1
	ds_load_b64 v[11:12], v0
	v_add_co_u32 v24, vcc_lo, v24, v54
	v_add_co_ci_u32_e32 v25, vcc_lo, 0, v25, vcc_lo
	s_mov_b32 s30, exec_lo
	s_waitcnt lgkmcnt(0)
	s_delay_alu instid0(VALU_DEP_1)
	v_cmpx_lt_u64_e64 v[11:12], v[24:25]
	s_cbranch_execz .LBB8_1118
; %bb.1108:                             ;   in Loop: Header=BB8_107 Depth=1
	s_mov_b32 s31, 0
	s_mov_b32 s36, 0
                                        ; implicit-def: $sgpr34
                                        ; implicit-def: $sgpr35
	s_branch .LBB8_1110
.LBB8_1109:                             ;   in Loop: Header=BB8_1110 Depth=2
	s_or_b32 exec_lo, exec_lo, s38
	s_delay_alu instid0(SALU_CYCLE_1) | instskip(NEXT) | instid1(SALU_CYCLE_1)
	s_and_b32 vcc_lo, exec_lo, vcc_lo
	s_or_b32 s31, vcc_lo, s31
	s_and_not1_b32 vcc_lo, s34, exec_lo
	s_and_b32 s34, s35, exec_lo
	s_delay_alu instid0(SALU_CYCLE_1)
	s_or_b32 s34, vcc_lo, s34
	s_and_not1_b32 exec_lo, exec_lo, s31
	s_cbranch_execz .LBB8_1116
.LBB8_1110:                             ;   Parent Loop BB8_107 Depth=1
                                        ; =>  This Inner Loop Header: Depth=2
	s_add_i32 s36, s36, 1
                                        ; implicit-def: $sgpr38
	s_delay_alu instid0(SALU_CYCLE_1) | instskip(SKIP_1) | instid1(SALU_CYCLE_1)
	s_cmpk_lg_i32 s36, 0x2710
	s_cselect_b32 s37, -1, 0
	s_and_b32 vcc_lo, exec_lo, s37
	s_cbranch_vccz .LBB8_1114
.LBB8_1111:                             ;   in Loop: Header=BB8_1110 Depth=2
	s_and_not1_b32 s35, s35, exec_lo
	s_and_b32 s38, s38, exec_lo
	s_mov_b32 vcc_lo, -1
	s_or_b32 s35, s35, s38
	s_and_saveexec_b32 s38, s37
	s_cbranch_execz .LBB8_1109
; %bb.1112:                             ;   in Loop: Header=BB8_1110 Depth=2
	s_sleep 1
	s_cbranch_execnz .LBB8_1398
; %bb.1113:                             ;   in Loop: Header=BB8_1110 Depth=2
	ds_load_b64 v[11:12], v0
	s_and_not1_b32 s35, s35, exec_lo
	s_waitcnt lgkmcnt(0)
	v_cmp_ge_u64_e32 vcc_lo, v[11:12], v[24:25]
	s_or_not1_b32 vcc_lo, vcc_lo, exec_lo
	s_branch .LBB8_1109
.LBB8_1114:                             ;   in Loop: Header=BB8_1110 Depth=2
	s_cbranch_execnz .LBB8_1424
; %bb.1115:                             ;   in Loop: Header=BB8_1110 Depth=2
	ds_load_b64 v[11:12], v0
	s_and_not1_b32 s37, s37, exec_lo
	s_mov_b32 s36, 0
	s_mov_b32 s38, -1
	s_waitcnt lgkmcnt(0)
	flat_load_b32 v1, v[11:12] glc
	s_waitcnt vmcnt(0) lgkmcnt(0)
	buffer_gl1_inv
	buffer_gl0_inv
	v_cmp_eq_u32_e32 vcc_lo, 0, v1
	s_and_b32 vcc_lo, vcc_lo, exec_lo
	s_delay_alu instid0(SALU_CYCLE_1)
	s_or_b32 s37, s37, vcc_lo
	s_branch .LBB8_1111
.LBB8_1116:                             ;   in Loop: Header=BB8_107 Depth=1
	s_or_b32 exec_lo, exec_lo, s31
	s_and_saveexec_b32 vcc_lo, s34
	s_delay_alu instid0(SALU_CYCLE_1)
	s_xor_b32 vcc_lo, exec_lo, vcc_lo
	s_cbranch_execz .LBB8_1118
; %bb.1117:                             ;   in Loop: Header=BB8_107 Depth=1
	ds_store_b32 v0, v97
	s_cbranch_execnz .LBB8_1557
.LBB8_1118:                             ;   in Loop: Header=BB8_107 Depth=1
	s_or_b32 exec_lo, exec_lo, s30
	;;#ASMSTART
	s_wakeup
	;;#ASMEND
.LBB8_1119:                             ;   in Loop: Header=BB8_107 Depth=1
	s_or_b32 exec_lo, exec_lo, vcc_hi
.LBB8_1120:                             ;   in Loop: Header=BB8_107 Depth=1
	s_and_not1_saveexec_b32 s16, s16
	s_cbranch_execz .LBB8_1122
; %bb.1121:                             ;   in Loop: Header=BB8_107 Depth=1
	s_waitcnt lgkmcnt(0)
	s_waitcnt_vscnt null, 0x0
	buffer_gl1_inv
	buffer_gl0_inv
	s_barrier
.LBB8_1122:                             ;   in Loop: Header=BB8_107 Depth=1
	s_or_b32 exec_lo, exec_lo, s16
.LBB8_1123:                             ;   in Loop: Header=BB8_107 Depth=1
	s_delay_alu instid0(SALU_CYCLE_1) | instskip(SKIP_1) | instid1(SALU_CYCLE_1)
	s_or_b32 exec_lo, exec_lo, s14
                                        ; implicit-def: $vgpr1
	s_and_saveexec_b32 s14, s25
	s_xor_b32 s14, exec_lo, s14
	s_cbranch_execz .LBB8_1145
; %bb.1124:                             ;   in Loop: Header=BB8_107 Depth=1
	s_and_saveexec_b32 s16, s4
	s_delay_alu instid0(SALU_CYCLE_1)
	s_xor_b32 s16, exec_lo, s16
	s_cbranch_execz .LBB8_1142
; %bb.1125:                             ;   in Loop: Header=BB8_107 Depth=1
	s_and_saveexec_b32 vcc_hi, s5
	s_cbranch_execz .LBB8_1141
; %bb.1126:                             ;   in Loop: Header=BB8_107 Depth=1
	s_mov_b32 s31, exec_lo
	s_mov_b32 s30, exec_lo
	v_mbcnt_lo_u32_b32 v1, s31, 0
	;;#ASMSTART
	s_waitcnt lgkmcnt(0) vmcnt(0)
	;;#ASMEND
	s_delay_alu instid0(VALU_DEP_1)
	v_cmpx_eq_u32_e32 0, v1
	s_cbranch_execz .LBB8_1128
; %bb.1127:                             ;   in Loop: Header=BB8_107 Depth=1
	s_bcnt1_i32_b32 vcc_lo, s31
	s_delay_alu instid0(SALU_CYCLE_1)
	v_mov_b32_e32 v1, vcc_lo
	ds_add_u64 v0, v[1:2]
	s_cbranch_execnz .LBB8_1344
.LBB8_1128:                             ;   in Loop: Header=BB8_107 Depth=1
	s_or_b32 exec_lo, exec_lo, s30
	s_cbranch_execnz .LBB8_1324
; %bb.1129:                             ;   in Loop: Header=BB8_107 Depth=1
	ds_load_b64 v[10:11], v0
	v_add_co_u32 v24, vcc_lo, v24, v54
	v_add_co_ci_u32_e32 v25, vcc_lo, 0, v25, vcc_lo
	s_mov_b32 s30, exec_lo
	s_waitcnt lgkmcnt(0)
	s_delay_alu instid0(VALU_DEP_1)
	v_cmpx_lt_u64_e64 v[10:11], v[24:25]
	s_cbranch_execz .LBB8_1140
; %bb.1130:                             ;   in Loop: Header=BB8_107 Depth=1
	s_mov_b32 s31, 0
	s_mov_b32 s36, 0
                                        ; implicit-def: $sgpr34
                                        ; implicit-def: $sgpr35
	s_branch .LBB8_1132
.LBB8_1131:                             ;   in Loop: Header=BB8_1132 Depth=2
	s_or_b32 exec_lo, exec_lo, s38
	s_delay_alu instid0(SALU_CYCLE_1) | instskip(NEXT) | instid1(SALU_CYCLE_1)
	s_and_b32 vcc_lo, exec_lo, vcc_lo
	s_or_b32 s31, vcc_lo, s31
	s_and_not1_b32 vcc_lo, s34, exec_lo
	s_and_b32 s34, s35, exec_lo
	s_delay_alu instid0(SALU_CYCLE_1)
	s_or_b32 s34, vcc_lo, s34
	s_and_not1_b32 exec_lo, exec_lo, s31
	s_cbranch_execz .LBB8_1138
.LBB8_1132:                             ;   Parent Loop BB8_107 Depth=1
                                        ; =>  This Inner Loop Header: Depth=2
	s_add_i32 s36, s36, 1
                                        ; implicit-def: $sgpr38
	s_delay_alu instid0(SALU_CYCLE_1) | instskip(SKIP_1) | instid1(SALU_CYCLE_1)
	s_cmpk_lg_i32 s36, 0x2710
	s_cselect_b32 s37, -1, 0
	s_and_b32 vcc_lo, exec_lo, s37
	s_cbranch_vccz .LBB8_1136
.LBB8_1133:                             ;   in Loop: Header=BB8_1132 Depth=2
	s_and_not1_b32 s35, s35, exec_lo
	s_and_b32 s38, s38, exec_lo
	s_mov_b32 vcc_lo, -1
	s_or_b32 s35, s35, s38
	s_and_saveexec_b32 s38, s37
	s_cbranch_execz .LBB8_1131
; %bb.1134:                             ;   in Loop: Header=BB8_1132 Depth=2
	s_sleep 1
	s_cbranch_execnz .LBB8_1412
; %bb.1135:                             ;   in Loop: Header=BB8_1132 Depth=2
	ds_load_b64 v[10:11], v0
	s_and_not1_b32 s35, s35, exec_lo
	s_waitcnt lgkmcnt(0)
	v_cmp_ge_u64_e32 vcc_lo, v[10:11], v[24:25]
	s_or_not1_b32 vcc_lo, vcc_lo, exec_lo
	s_branch .LBB8_1131
.LBB8_1136:                             ;   in Loop: Header=BB8_1132 Depth=2
	s_cbranch_execnz .LBB8_1445
; %bb.1137:                             ;   in Loop: Header=BB8_1132 Depth=2
	ds_load_b64 v[10:11], v0
	s_and_not1_b32 s37, s37, exec_lo
	s_mov_b32 s36, 0
	s_mov_b32 s38, -1
	s_waitcnt lgkmcnt(0)
	s_waitcnt_vscnt null, 0x0
	flat_load_b32 v1, v[10:11] glc
	s_waitcnt vmcnt(0) lgkmcnt(0)
	buffer_gl1_inv
	buffer_gl0_inv
	v_cmp_eq_u32_e32 vcc_lo, 0, v1
	s_and_b32 vcc_lo, vcc_lo, exec_lo
	s_delay_alu instid0(SALU_CYCLE_1)
	s_or_b32 s37, s37, vcc_lo
	s_branch .LBB8_1133
.LBB8_1138:                             ;   in Loop: Header=BB8_107 Depth=1
	s_or_b32 exec_lo, exec_lo, s31
	s_and_saveexec_b32 vcc_lo, s34
	s_delay_alu instid0(SALU_CYCLE_1)
	s_xor_b32 vcc_lo, exec_lo, vcc_lo
	s_cbranch_execz .LBB8_1140
; %bb.1139:                             ;   in Loop: Header=BB8_107 Depth=1
	ds_store_b32 v0, v97
	s_cbranch_execnz .LBB8_1565
.LBB8_1140:                             ;   in Loop: Header=BB8_107 Depth=1
	s_or_b32 exec_lo, exec_lo, s30
	;;#ASMSTART
	s_wakeup
	;;#ASMEND
.LBB8_1141:                             ;   in Loop: Header=BB8_107 Depth=1
	s_or_b32 exec_lo, exec_lo, vcc_hi
.LBB8_1142:                             ;   in Loop: Header=BB8_107 Depth=1
	s_and_not1_saveexec_b32 s16, s16
	s_cbranch_execz .LBB8_1144
; %bb.1143:                             ;   in Loop: Header=BB8_107 Depth=1
	;;#ASMSTART
	s_waitcnt lgkmcnt(0) vmcnt(0)
	;;#ASMEND
	s_waitcnt lgkmcnt(0)
	s_waitcnt_vscnt null, 0x0
	s_barrier
.LBB8_1144:                             ;   in Loop: Header=BB8_107 Depth=1
	s_or_b32 exec_lo, exec_lo, s16
	v_and_b32_e32 v1, 16, v48
                                        ; implicit-def: $vgpr10
.LBB8_1145:                             ;   in Loop: Header=BB8_107 Depth=1
	s_and_not1_saveexec_b32 s16, s14
	s_cbranch_execz .LBB8_1150
; %bb.1146:                             ;   in Loop: Header=BB8_107 Depth=1
	s_cbranch_execnz .LBB8_1264
; %bb.1147:                             ;   in Loop: Header=BB8_107 Depth=1
	ds_load_b32 v1, v0
	v_cmp_lt_i32_e32 vcc_lo, 0, v10
	s_waitcnt lgkmcnt(0)
	v_readfirstlane_b32 s14, v1
	v_and_b32_e32 v1, 16, v48
	s_delay_alu instid0(VALU_DEP_2) | instskip(NEXT) | instid1(VALU_DEP_1)
	s_cmp_eq_u32 s14, 0
	v_cmp_ne_u32_e64 s14, 0, v1
	s_cselect_b32 vcc_hi, -1, 0
	v_and_b32_e32 v1, 16, v48
	s_and_b32 vcc_lo, vcc_lo, vcc_hi
	s_delay_alu instid0(VALU_DEP_2) | instid1(SALU_CYCLE_1)
	s_and_b32 vcc_lo, s14, vcc_lo
	s_delay_alu instid0(SALU_CYCLE_1)
	s_and_saveexec_b32 s14, vcc_lo
	s_cbranch_execz .LBB8_1149
; %bb.1148:                             ;   in Loop: Header=BB8_107 Depth=1
	v_mov_b32_e32 v1, 1
	s_waitcnt_vscnt null, 0x0
	buffer_gl1_inv
	buffer_gl0_inv
.LBB8_1149:                             ;   in Loop: Header=BB8_107 Depth=1
	s_or_b32 exec_lo, exec_lo, s14
.LBB8_1150:                             ;   in Loop: Header=BB8_107 Depth=1
	s_delay_alu instid0(SALU_CYCLE_1)
	s_or_b32 exec_lo, exec_lo, s16
	s_mov_b32 s14, s18
	s_mov_b32 s16, s17
	s_mov_b32 vcc_hi, exec_lo
	v_cmpx_ne_u32_e32 0, v1
; %bb.1151:                             ;   in Loop: Header=BB8_107 Depth=1
	s_and_not1_b32 s14, s17, exec_lo
	s_and_b32 s16, s12, exec_lo
	s_and_not1_b32 vcc_lo, s18, exec_lo
	s_and_b32 s30, s13, exec_lo
	s_or_b32 s16, s14, s16
	s_or_b32 s14, vcc_lo, s30
; %bb.1152:                             ;   in Loop: Header=BB8_107 Depth=1
	s_or_b32 exec_lo, exec_lo, vcc_hi
	s_delay_alu instid0(SALU_CYCLE_1)
	s_and_not1_b32 vcc_lo, s17, exec_lo
	s_and_b32 s16, s16, exec_lo
	s_and_not1_b32 vcc_hi, s18, exec_lo
	s_and_b32 s14, s14, exec_lo
	s_or_b32 vcc_lo, vcc_lo, s16
	s_or_b32 s16, vcc_hi, s14
.LBB8_1153:                             ;   in Loop: Header=BB8_107 Depth=1
	s_or_b32 exec_lo, exec_lo, s15
	s_delay_alu instid0(SALU_CYCLE_1)
	s_and_not1_b32 s14, s17, exec_lo
	s_and_b32 s15, vcc_lo, exec_lo
	s_and_not1_b32 s18, s18, exec_lo
	s_and_b32 s16, s16, exec_lo
	s_or_b32 s17, s14, s15
	s_or_b32 s18, s18, s16
.LBB8_1154:                             ;   in Loop: Header=BB8_107 Depth=1
	s_or_b32 exec_lo, exec_lo, s19
	s_and_saveexec_b32 s14, s18
	s_cbranch_execz .LBB8_1156
; %bb.1155:                             ;   in Loop: Header=BB8_107 Depth=1
	s_or_b32 s17, s17, exec_lo
	s_waitcnt lgkmcnt(0)
	s_waitcnt_vscnt null, 0x0
	flat_store_b32 v[26:27], v97
.LBB8_1156:                             ;   in Loop: Header=BB8_107 Depth=1
	s_or_b32 exec_lo, exec_lo, s14
	s_delay_alu instid0(SALU_CYCLE_1) | instskip(SKIP_1) | instid1(SALU_CYCLE_1)
	s_and_not1_b32 s14, s28, exec_lo
	s_and_b32 s15, s17, exec_lo
	s_or_b32 s28, s14, s15
.LBB8_1157:                             ;   in Loop: Header=BB8_107 Depth=1
	s_or_b32 exec_lo, exec_lo, s29
	s_and_saveexec_b32 s14, s28
	s_cbranch_execz .LBB8_106
; %bb.1158:                             ;   in Loop: Header=BB8_107 Depth=1
	v_add_co_u32 v8, vcc_lo, v8, 1
	v_add_co_ci_u32_e32 v9, vcc_lo, 0, v9, vcc_lo
	s_waitcnt lgkmcnt(0)
	s_waitcnt_vscnt null, 0x0
	flat_store_b64 v[20:21], v[8:9]
	s_branch .LBB8_106
.LBB8_1159:
	s_trap 2
	s_sendmsg_rtn_b32 s0, sendmsg(MSG_RTN_GET_DOORBELL)
	s_mov_b32 ttmp2, m0
	s_waitcnt lgkmcnt(0)
	s_and_b32 s0, s0, 0x3ff
	s_delay_alu instid0(SALU_CYCLE_1) | instskip(NEXT) | instid1(SALU_CYCLE_1)
	s_bitset1_b32 s0, 10
	s_mov_b32 m0, s0
	s_sendmsg sendmsg(MSG_INTERRUPT)
	s_mov_b32 m0, ttmp2
.LBB8_1160:                             ; =>This Inner Loop Header: Depth=1
	s_sethalt 5
	s_branch .LBB8_1160
.LBB8_1161:
	s_trap 2
	s_sendmsg_rtn_b32 s0, sendmsg(MSG_RTN_GET_DOORBELL)
	s_mov_b32 ttmp2, m0
	s_waitcnt lgkmcnt(0)
	s_and_b32 s0, s0, 0x3ff
	s_delay_alu instid0(SALU_CYCLE_1) | instskip(NEXT) | instid1(SALU_CYCLE_1)
	s_bitset1_b32 s0, 10
	s_mov_b32 m0, s0
	s_sendmsg sendmsg(MSG_INTERRUPT)
	s_mov_b32 m0, ttmp2
.LBB8_1162:                             ; =>This Inner Loop Header: Depth=1
	s_sethalt 5
	s_branch .LBB8_1162
.LBB8_1163:
	s_trap 2
	s_sendmsg_rtn_b32 s0, sendmsg(MSG_RTN_GET_DOORBELL)
	s_mov_b32 ttmp2, m0
	s_waitcnt lgkmcnt(0)
	s_and_b32 s0, s0, 0x3ff
	s_delay_alu instid0(SALU_CYCLE_1) | instskip(NEXT) | instid1(SALU_CYCLE_1)
	s_bitset1_b32 s0, 10
	s_mov_b32 m0, s0
	s_sendmsg sendmsg(MSG_INTERRUPT)
	s_mov_b32 m0, ttmp2
.LBB8_1164:                             ; =>This Inner Loop Header: Depth=1
	s_sethalt 5
	s_branch .LBB8_1164
.LBB8_1165:
	s_trap 2
	s_sendmsg_rtn_b32 s0, sendmsg(MSG_RTN_GET_DOORBELL)
	s_mov_b32 ttmp2, m0
	s_waitcnt lgkmcnt(0)
	s_and_b32 s0, s0, 0x3ff
	s_delay_alu instid0(SALU_CYCLE_1) | instskip(NEXT) | instid1(SALU_CYCLE_1)
	s_bitset1_b32 s0, 10
	s_mov_b32 m0, s0
	s_sendmsg sendmsg(MSG_INTERRUPT)
	s_mov_b32 m0, ttmp2
.LBB8_1166:                             ; =>This Inner Loop Header: Depth=1
	s_sethalt 5
	s_branch .LBB8_1166
.LBB8_1167:
	s_trap 2
	s_sendmsg_rtn_b32 s0, sendmsg(MSG_RTN_GET_DOORBELL)
	s_mov_b32 ttmp2, m0
	s_waitcnt lgkmcnt(0)
	s_and_b32 s0, s0, 0x3ff
	s_delay_alu instid0(SALU_CYCLE_1) | instskip(NEXT) | instid1(SALU_CYCLE_1)
	s_bitset1_b32 s0, 10
	s_mov_b32 m0, s0
	s_sendmsg sendmsg(MSG_INTERRUPT)
	s_mov_b32 m0, ttmp2
.LBB8_1168:                             ; =>This Inner Loop Header: Depth=1
	s_sethalt 5
	s_branch .LBB8_1168
.LBB8_1169:
	s_trap 2
	s_sendmsg_rtn_b32 s0, sendmsg(MSG_RTN_GET_DOORBELL)
	s_mov_b32 ttmp2, m0
	s_waitcnt lgkmcnt(0)
	s_and_b32 s0, s0, 0x3ff
	s_delay_alu instid0(SALU_CYCLE_1) | instskip(NEXT) | instid1(SALU_CYCLE_1)
	s_bitset1_b32 s0, 10
	s_mov_b32 m0, s0
	s_sendmsg sendmsg(MSG_INTERRUPT)
	s_mov_b32 m0, ttmp2
.LBB8_1170:                             ; =>This Inner Loop Header: Depth=1
	s_sethalt 5
	s_branch .LBB8_1170
.LBB8_1171:
	s_trap 2
	s_sendmsg_rtn_b32 s0, sendmsg(MSG_RTN_GET_DOORBELL)
	s_mov_b32 ttmp2, m0
	s_waitcnt lgkmcnt(0)
	s_and_b32 s0, s0, 0x3ff
	s_delay_alu instid0(SALU_CYCLE_1) | instskip(NEXT) | instid1(SALU_CYCLE_1)
	s_bitset1_b32 s0, 10
	s_mov_b32 m0, s0
	s_sendmsg sendmsg(MSG_INTERRUPT)
	s_mov_b32 m0, ttmp2
.LBB8_1172:                             ; =>This Inner Loop Header: Depth=1
	s_sethalt 5
	s_branch .LBB8_1172
.LBB8_1173:
	s_trap 2
	s_sendmsg_rtn_b32 s0, sendmsg(MSG_RTN_GET_DOORBELL)
	s_mov_b32 ttmp2, m0
	s_waitcnt lgkmcnt(0)
	s_and_b32 s0, s0, 0x3ff
	s_delay_alu instid0(SALU_CYCLE_1) | instskip(NEXT) | instid1(SALU_CYCLE_1)
	s_bitset1_b32 s0, 10
	s_mov_b32 m0, s0
	s_sendmsg sendmsg(MSG_INTERRUPT)
	s_mov_b32 m0, ttmp2
.LBB8_1174:                             ; =>This Inner Loop Header: Depth=1
	s_sethalt 5
	s_branch .LBB8_1174
.LBB8_1175:
	s_trap 2
	s_sendmsg_rtn_b32 s0, sendmsg(MSG_RTN_GET_DOORBELL)
	s_mov_b32 ttmp2, m0
	s_waitcnt lgkmcnt(0)
	s_and_b32 s0, s0, 0x3ff
	s_delay_alu instid0(SALU_CYCLE_1) | instskip(NEXT) | instid1(SALU_CYCLE_1)
	s_bitset1_b32 s0, 10
	s_mov_b32 m0, s0
	s_sendmsg sendmsg(MSG_INTERRUPT)
	s_mov_b32 m0, ttmp2
.LBB8_1176:                             ; =>This Inner Loop Header: Depth=1
	s_sethalt 5
	s_branch .LBB8_1176
.LBB8_1177:
	s_trap 2
	s_sendmsg_rtn_b32 s0, sendmsg(MSG_RTN_GET_DOORBELL)
	s_mov_b32 ttmp2, m0
	s_waitcnt lgkmcnt(0)
	s_and_b32 s0, s0, 0x3ff
	s_delay_alu instid0(SALU_CYCLE_1) | instskip(NEXT) | instid1(SALU_CYCLE_1)
	s_bitset1_b32 s0, 10
	s_mov_b32 m0, s0
	s_sendmsg sendmsg(MSG_INTERRUPT)
	s_mov_b32 m0, ttmp2
.LBB8_1178:                             ; =>This Inner Loop Header: Depth=1
	s_sethalt 5
	s_branch .LBB8_1178
.LBB8_1179:
	s_trap 2
	s_sendmsg_rtn_b32 s0, sendmsg(MSG_RTN_GET_DOORBELL)
	s_mov_b32 ttmp2, m0
	s_waitcnt lgkmcnt(0)
	s_and_b32 s0, s0, 0x3ff
	s_delay_alu instid0(SALU_CYCLE_1) | instskip(NEXT) | instid1(SALU_CYCLE_1)
	s_bitset1_b32 s0, 10
	s_mov_b32 m0, s0
	s_sendmsg sendmsg(MSG_INTERRUPT)
	s_mov_b32 m0, ttmp2
.LBB8_1180:                             ; =>This Inner Loop Header: Depth=1
	s_sethalt 5
	s_branch .LBB8_1180
.LBB8_1181:
	s_or_b32 exec_lo, exec_lo, s23
.LBB8_1182:
	s_delay_alu instid0(SALU_CYCLE_1)
	s_or_b32 exec_lo, exec_lo, s22
; %bb.1183:
	v_and_b32_e32 v0, 0x800, v48
	s_mov_b32 s0, exec_lo
	s_delay_alu instid0(VALU_DEP_1)
	v_cmpx_eq_u32_e32 0, v0
	s_cbranch_execz .LBB8_1432
; %bb.1184:
	v_and_b32_e32 v0, 48, v48
	s_mov_b32 s1, exec_lo
	s_delay_alu instid0(VALU_DEP_1)
	v_cmpx_ne_u32_e32 0, v0
	s_cbranch_execz .LBB8_1186
; %bb.1185:
	s_waitcnt lgkmcnt(0)
	flat_store_b64 v[18:19], v[8:9] offset:104
.LBB8_1186:
	s_or_b32 exec_lo, exec_lo, s1
	v_and_b32_e32 v0, 0x88, v48
	s_mov_b32 s1, exec_lo
	s_delay_alu instid0(VALU_DEP_1)
	v_cmpx_eq_u32_e32 0x88, v0
	s_cbranch_execz .LBB8_1202
; %bb.1187:
	s_waitcnt lgkmcnt(0)
	v_add_nc_u32_e32 v0, -1, v8
	s_mov_b32 s2, 0
                                        ; implicit-def: $sgpr3
	s_delay_alu instid0(VALU_DEP_1) | instskip(NEXT) | instid1(VALU_DEP_1)
	v_and_b32_e32 v2, 7, v0
	v_mad_u64_u32 v[0:1], null, v2, 24, v[6:7]
	v_mov_b32_e32 v2, 0
	s_delay_alu instid0(VALU_DEP_2) | instskip(NEXT) | instid1(VALU_DEP_3)
	v_add_co_u32 v0, vcc_lo, v0, 8
	v_add_co_ci_u32_e32 v1, vcc_lo, 0, v1, vcc_lo
	s_branch .LBB8_1192
.LBB8_1188:                             ;   in Loop: Header=BB8_1192 Depth=1
	s_or_b32 exec_lo, exec_lo, s10
	v_mov_b32_e32 v3, 0
	s_or_not1_b32 s7, s7, exec_lo
.LBB8_1189:                             ;   in Loop: Header=BB8_1192 Depth=1
	s_or_b32 exec_lo, exec_lo, s6
	s_delay_alu instid0(VALU_DEP_1)
	v_mov_b32_e32 v2, v3
	s_and_b32 s6, s7, exec_lo
.LBB8_1190:                             ;   in Loop: Header=BB8_1192 Depth=1
	s_or_b32 exec_lo, exec_lo, s5
	s_xor_b32 s5, s6, -1
	s_and_not1_b32 s3, s3, exec_lo
	s_and_b32 s5, s5, exec_lo
	s_delay_alu instid0(SALU_CYCLE_1)
	s_or_b32 s3, s3, s5
.LBB8_1191:                             ;   in Loop: Header=BB8_1192 Depth=1
	s_or_b32 exec_lo, exec_lo, s4
	s_delay_alu instid0(SALU_CYCLE_1) | instskip(NEXT) | instid1(SALU_CYCLE_1)
	s_and_b32 s4, exec_lo, s3
	s_or_b32 s2, s4, s2
	s_delay_alu instid0(SALU_CYCLE_1)
	s_and_not1_b32 exec_lo, exec_lo, s2
	s_cbranch_execz .LBB8_1201
.LBB8_1192:                             ; =>This Inner Loop Header: Depth=1
	flat_load_b64 v[3:4], v[0:1] glc dlc
	s_waitcnt vmcnt(0)
	s_or_b32 s3, s3, exec_lo
	s_mov_b32 s4, exec_lo
	s_waitcnt lgkmcnt(0)
	v_cmpx_ne_u64_e32 -1, v[3:4]
	s_cbranch_execz .LBB8_1191
; %bb.1193:                             ;   in Loop: Header=BB8_1192 Depth=1
	v_and_b32_e32 v3, 64, v48
	s_mov_b32 s6, 0
	s_mov_b32 s5, exec_lo
	s_delay_alu instid0(VALU_DEP_1)
	v_cmpx_eq_u32_e32 0, v3
	s_cbranch_execz .LBB8_1190
; %bb.1194:                             ;   in Loop: Header=BB8_1192 Depth=1
	v_add_nc_u32_e32 v3, 1, v2
	s_mov_b32 s7, -1
	s_mov_b32 s6, exec_lo
	v_cmpx_lt_i32_e32 0x270e, v2
	s_cbranch_execz .LBB8_1189
; %bb.1195:                             ;   in Loop: Header=BB8_1192 Depth=1
	s_cbranch_execnz .LBB8_1199
; %bb.1196:                             ;   in Loop: Header=BB8_1192 Depth=1
	ds_load_b64 v[2:3], v0
	s_mov_b32 s10, exec_lo
	s_waitcnt lgkmcnt(0)
	s_waitcnt_vscnt null, 0x0
	flat_load_b32 v2, v[2:3] glc
	s_waitcnt vmcnt(0) lgkmcnt(0)
	buffer_gl1_inv
	buffer_gl0_inv
	v_cmpx_ne_u32_e32 0, v2
	s_cbranch_execz .LBB8_1188
; %bb.1197:                             ;   in Loop: Header=BB8_1192 Depth=1
	ds_store_b32 v0, v2
	s_cbranch_execnz .LBB8_1215
; %bb.1198:                             ;   in Loop: Header=BB8_1192 Depth=1
	v_or_b32_e32 v48, 64, v48
	s_xor_b32 s7, exec_lo, -1
	s_branch .LBB8_1188
.LBB8_1199:
	s_trap 2
	s_sendmsg_rtn_b32 s0, sendmsg(MSG_RTN_GET_DOORBELL)
	s_mov_b32 ttmp2, m0
	s_waitcnt lgkmcnt(0)
	s_and_b32 s0, s0, 0x3ff
	s_delay_alu instid0(SALU_CYCLE_1) | instskip(NEXT) | instid1(SALU_CYCLE_1)
	s_bitset1_b32 s0, 10
	s_mov_b32 m0, s0
	s_sendmsg sendmsg(MSG_INTERRUPT)
	s_mov_b32 m0, ttmp2
.LBB8_1200:                             ; =>This Inner Loop Header: Depth=1
	s_sethalt 5
	s_branch .LBB8_1200
.LBB8_1201:
	s_or_b32 exec_lo, exec_lo, s2
.LBB8_1202:
	s_delay_alu instid0(SALU_CYCLE_1) | instskip(SKIP_2) | instid1(VALU_DEP_1)
	s_or_b32 exec_lo, exec_lo, s1
	v_and_b32_e32 v0, 0x2000, v48
	s_mov_b32 s1, exec_lo
	v_cmpx_ne_u32_e32 0, v0
	s_cbranch_execz .LBB8_1205
; %bb.1203:
	s_cbranch_execnz .LBB8_1213
; %bb.1204:
	ds_load_b64 v[0:1], v0
	s_waitcnt lgkmcnt(0)
	flat_store_b64 v[16:17], v[0:1] offset:16
.LBB8_1205:
	s_or_b32 exec_lo, exec_lo, s1
	v_cmp_ne_u32_e32 vcc_lo, 32, v30
	s_and_b32 exec_lo, exec_lo, vcc_lo
	s_cbranch_execz .LBB8_1432
; %bb.1206:
	s_mov_b32 s1, exec_lo
	v_cmpx_ne_u32_e64 v30, v50
	s_xor_b32 s1, exec_lo, s1
	s_cbranch_execz .LBB8_1430
; %bb.1207:
	v_and_b32_e32 v0, 31, v31
	s_mov_b32 s2, exec_lo
	s_delay_alu instid0(VALU_DEP_1)
	v_cmpx_eq_u32_e32 0, v0
	s_cbranch_execz .LBB8_1429
; %bb.1208:
	s_mov_b32 s4, exec_lo
	s_mov_b32 s3, exec_lo
	v_mbcnt_lo_u32_b32 v0, s4, 0
	s_waitcnt lgkmcnt(0)
	s_waitcnt_vscnt null, 0x0
	buffer_gl1_inv
	buffer_gl0_inv
	v_cmpx_eq_u32_e32 0, v0
	s_cbranch_execz .LBB8_1210
; %bb.1209:
	s_bcnt1_i32_b32 s4, s4
	s_delay_alu instid0(SALU_CYCLE_1)
	v_dual_mov_b32 v1, 0 :: v_dual_mov_b32 v0, s4
	ds_add_u64 v0, v[0:1]
	s_cbranch_execnz .LBB8_1260
.LBB8_1210:
	s_or_b32 exec_lo, exec_lo, s3
	s_cbranch_execnz .LBB8_1235
; %bb.1211:
	v_ashrrev_i32_e32 v0, 31, v30
	s_mov_b32 s3, exec_lo
	s_delay_alu instid0(VALU_DEP_1) | instskip(NEXT) | instid1(VALU_DEP_1)
	v_lshrrev_b32_e32 v0, 27, v0
	v_add_nc_u32_e32 v0, v30, v0
	ds_load_b64 v[2:3], v0
	v_ashrrev_i32_e32 v0, 5, v0
	s_delay_alu instid0(VALU_DEP_1) | instskip(SKIP_1) | instid1(VALU_DEP_2)
	v_ashrrev_i32_e32 v1, 31, v0
	v_add_co_u32 v0, vcc_lo, v24, v0
	v_add_co_ci_u32_e32 v1, vcc_lo, v25, v1, vcc_lo
	s_waitcnt lgkmcnt(0)
	s_delay_alu instid0(VALU_DEP_1)
	v_cmpx_lt_u64_e64 v[2:3], v[0:1]
	s_cbranch_execz .LBB8_1428
; %bb.1212:
	s_mov_b32 s4, 0
	s_mov_b32 s7, 0
                                        ; implicit-def: $sgpr5
                                        ; implicit-def: $sgpr6
	s_branch .LBB8_1244
.LBB8_1213:
	s_trap 2
	s_sendmsg_rtn_b32 s0, sendmsg(MSG_RTN_GET_DOORBELL)
	s_mov_b32 ttmp2, m0
	s_waitcnt lgkmcnt(0)
	s_and_b32 s0, s0, 0x3ff
	s_delay_alu instid0(SALU_CYCLE_1) | instskip(NEXT) | instid1(SALU_CYCLE_1)
	s_bitset1_b32 s0, 10
	s_mov_b32 m0, s0
	s_sendmsg sendmsg(MSG_INTERRUPT)
	s_mov_b32 m0, ttmp2
.LBB8_1214:                             ; =>This Inner Loop Header: Depth=1
	s_sethalt 5
	s_branch .LBB8_1214
.LBB8_1215:
	s_trap 2
	s_sendmsg_rtn_b32 s0, sendmsg(MSG_RTN_GET_DOORBELL)
	s_mov_b32 ttmp2, m0
	s_waitcnt lgkmcnt(0)
	s_and_b32 s0, s0, 0x3ff
	s_delay_alu instid0(SALU_CYCLE_1) | instskip(NEXT) | instid1(SALU_CYCLE_1)
	s_bitset1_b32 s0, 10
	s_mov_b32 m0, s0
	s_sendmsg sendmsg(MSG_INTERRUPT)
	s_mov_b32 m0, ttmp2
.LBB8_1216:                             ; =>This Inner Loop Header: Depth=1
	s_sethalt 5
	s_branch .LBB8_1216
.LBB8_1217:
	s_trap 2
	s_sendmsg_rtn_b32 s0, sendmsg(MSG_RTN_GET_DOORBELL)
	s_mov_b32 ttmp2, m0
	s_waitcnt lgkmcnt(0)
	s_and_b32 s0, s0, 0x3ff
	s_delay_alu instid0(SALU_CYCLE_1) | instskip(NEXT) | instid1(SALU_CYCLE_1)
	s_bitset1_b32 s0, 10
	s_mov_b32 m0, s0
	s_sendmsg sendmsg(MSG_INTERRUPT)
	s_mov_b32 m0, ttmp2
.LBB8_1218:                             ; =>This Inner Loop Header: Depth=1
	s_sethalt 5
	s_branch .LBB8_1218
.LBB8_1219:
	s_trap 2
	s_sendmsg_rtn_b32 s0, sendmsg(MSG_RTN_GET_DOORBELL)
	s_mov_b32 ttmp2, m0
	s_waitcnt lgkmcnt(0)
	s_and_b32 s0, s0, 0x3ff
	s_delay_alu instid0(SALU_CYCLE_1) | instskip(NEXT) | instid1(SALU_CYCLE_1)
	s_bitset1_b32 s0, 10
	s_mov_b32 m0, s0
	s_sendmsg sendmsg(MSG_INTERRUPT)
	s_mov_b32 m0, ttmp2
.LBB8_1220:                             ; =>This Inner Loop Header: Depth=1
	s_sethalt 5
	s_branch .LBB8_1220
.LBB8_1221:
	s_trap 2
	s_sendmsg_rtn_b32 s0, sendmsg(MSG_RTN_GET_DOORBELL)
	s_mov_b32 ttmp2, m0
	s_waitcnt lgkmcnt(0)
	s_and_b32 s0, s0, 0x3ff
	s_delay_alu instid0(SALU_CYCLE_1) | instskip(NEXT) | instid1(SALU_CYCLE_1)
	s_bitset1_b32 s0, 10
	s_mov_b32 m0, s0
	s_sendmsg sendmsg(MSG_INTERRUPT)
	s_mov_b32 m0, ttmp2
.LBB8_1222:                             ; =>This Inner Loop Header: Depth=1
	s_sethalt 5
	s_branch .LBB8_1222
.LBB8_1223:
	s_trap 2
	s_sendmsg_rtn_b32 s0, sendmsg(MSG_RTN_GET_DOORBELL)
	s_mov_b32 ttmp2, m0
	s_waitcnt lgkmcnt(0)
	s_and_b32 s0, s0, 0x3ff
	s_delay_alu instid0(SALU_CYCLE_1) | instskip(NEXT) | instid1(SALU_CYCLE_1)
	s_bitset1_b32 s0, 10
	s_mov_b32 m0, s0
	s_sendmsg sendmsg(MSG_INTERRUPT)
	s_mov_b32 m0, ttmp2
.LBB8_1224:                             ; =>This Inner Loop Header: Depth=1
	s_sethalt 5
	s_branch .LBB8_1224
.LBB8_1225:
	s_trap 2
	s_sendmsg_rtn_b32 s0, sendmsg(MSG_RTN_GET_DOORBELL)
	s_mov_b32 ttmp2, m0
	s_waitcnt lgkmcnt(0)
	s_and_b32 s0, s0, 0x3ff
	s_delay_alu instid0(SALU_CYCLE_1) | instskip(NEXT) | instid1(SALU_CYCLE_1)
	s_bitset1_b32 s0, 10
	s_mov_b32 m0, s0
	s_sendmsg sendmsg(MSG_INTERRUPT)
	s_mov_b32 m0, ttmp2
.LBB8_1226:                             ; =>This Inner Loop Header: Depth=1
	s_sethalt 5
	s_branch .LBB8_1226
.LBB8_1227:
	s_trap 2
	s_sendmsg_rtn_b32 s0, sendmsg(MSG_RTN_GET_DOORBELL)
	s_mov_b32 ttmp2, m0
	s_waitcnt lgkmcnt(0)
	s_and_b32 s0, s0, 0x3ff
	s_delay_alu instid0(SALU_CYCLE_1) | instskip(NEXT) | instid1(SALU_CYCLE_1)
	s_bitset1_b32 s0, 10
	s_mov_b32 m0, s0
	s_sendmsg sendmsg(MSG_INTERRUPT)
	s_mov_b32 m0, ttmp2
.LBB8_1228:                             ; =>This Inner Loop Header: Depth=1
	s_sethalt 5
	s_branch .LBB8_1228
.LBB8_1229:
	s_trap 2
	s_sendmsg_rtn_b32 s0, sendmsg(MSG_RTN_GET_DOORBELL)
	s_mov_b32 ttmp2, m0
	s_waitcnt lgkmcnt(0)
	s_and_b32 s0, s0, 0x3ff
	s_delay_alu instid0(SALU_CYCLE_1) | instskip(NEXT) | instid1(SALU_CYCLE_1)
	s_bitset1_b32 s0, 10
	s_mov_b32 m0, s0
	s_sendmsg sendmsg(MSG_INTERRUPT)
	s_mov_b32 m0, ttmp2
.LBB8_1230:                             ; =>This Inner Loop Header: Depth=1
	s_sethalt 5
	s_branch .LBB8_1230
.LBB8_1231:
	s_trap 2
	s_sendmsg_rtn_b32 s0, sendmsg(MSG_RTN_GET_DOORBELL)
	s_mov_b32 ttmp2, m0
	s_waitcnt lgkmcnt(0)
	s_and_b32 s0, s0, 0x3ff
	s_delay_alu instid0(SALU_CYCLE_1) | instskip(NEXT) | instid1(SALU_CYCLE_1)
	s_bitset1_b32 s0, 10
	s_mov_b32 m0, s0
	s_sendmsg sendmsg(MSG_INTERRUPT)
	s_mov_b32 m0, ttmp2
.LBB8_1232:                             ; =>This Inner Loop Header: Depth=1
	s_sethalt 5
	s_branch .LBB8_1232
.LBB8_1233:
	s_trap 2
	s_sendmsg_rtn_b32 s0, sendmsg(MSG_RTN_GET_DOORBELL)
	s_mov_b32 ttmp2, m0
	s_waitcnt lgkmcnt(0)
	s_and_b32 s0, s0, 0x3ff
	s_delay_alu instid0(SALU_CYCLE_1) | instskip(NEXT) | instid1(SALU_CYCLE_1)
	s_bitset1_b32 s0, 10
	s_mov_b32 m0, s0
	s_sendmsg sendmsg(MSG_INTERRUPT)
	s_mov_b32 m0, ttmp2
.LBB8_1234:                             ; =>This Inner Loop Header: Depth=1
	s_sethalt 5
	s_branch .LBB8_1234
.LBB8_1235:
	s_trap 2
	s_sendmsg_rtn_b32 s0, sendmsg(MSG_RTN_GET_DOORBELL)
	s_mov_b32 ttmp2, m0
	s_waitcnt lgkmcnt(0)
	s_and_b32 s0, s0, 0x3ff
	s_delay_alu instid0(SALU_CYCLE_1) | instskip(NEXT) | instid1(SALU_CYCLE_1)
	s_bitset1_b32 s0, 10
	s_mov_b32 m0, s0
	s_sendmsg sendmsg(MSG_INTERRUPT)
	s_mov_b32 m0, ttmp2
.LBB8_1236:                             ; =>This Inner Loop Header: Depth=1
	s_sethalt 5
	s_branch .LBB8_1236
.LBB8_1237:
	s_trap 2
	s_sendmsg_rtn_b32 s0, sendmsg(MSG_RTN_GET_DOORBELL)
	s_mov_b32 ttmp2, m0
	s_waitcnt lgkmcnt(0)
	s_and_b32 s0, s0, 0x3ff
	s_delay_alu instid0(SALU_CYCLE_1) | instskip(NEXT) | instid1(SALU_CYCLE_1)
	s_bitset1_b32 s0, 10
	s_mov_b32 m0, s0
	s_sendmsg sendmsg(MSG_INTERRUPT)
	s_mov_b32 m0, ttmp2
.LBB8_1238:                             ; =>This Inner Loop Header: Depth=1
	s_sethalt 5
	s_branch .LBB8_1238
.LBB8_1239:
	s_trap 2
	s_sendmsg_rtn_b32 s0, sendmsg(MSG_RTN_GET_DOORBELL)
	s_mov_b32 ttmp2, m0
	s_waitcnt lgkmcnt(0)
	s_and_b32 s0, s0, 0x3ff
	s_delay_alu instid0(SALU_CYCLE_1) | instskip(NEXT) | instid1(SALU_CYCLE_1)
	s_bitset1_b32 s0, 10
	s_mov_b32 m0, s0
	s_sendmsg sendmsg(MSG_INTERRUPT)
	s_mov_b32 m0, ttmp2
.LBB8_1240:                             ; =>This Inner Loop Header: Depth=1
	s_sethalt 5
	s_branch .LBB8_1240
.LBB8_1241:
	s_trap 2
	s_sendmsg_rtn_b32 s0, sendmsg(MSG_RTN_GET_DOORBELL)
	s_mov_b32 ttmp2, m0
	s_waitcnt lgkmcnt(0)
	s_and_b32 s0, s0, 0x3ff
	s_delay_alu instid0(SALU_CYCLE_1) | instskip(NEXT) | instid1(SALU_CYCLE_1)
	s_bitset1_b32 s0, 10
	s_mov_b32 m0, s0
	s_sendmsg sendmsg(MSG_INTERRUPT)
	s_mov_b32 m0, ttmp2
.LBB8_1242:                             ; =>This Inner Loop Header: Depth=1
	s_sethalt 5
	s_branch .LBB8_1242
.LBB8_1243:                             ;   in Loop: Header=BB8_1244 Depth=1
	s_or_b32 exec_lo, exec_lo, s12
	s_delay_alu instid0(SALU_CYCLE_1) | instskip(NEXT) | instid1(SALU_CYCLE_1)
	s_and_b32 s10, exec_lo, s11
	s_or_b32 s4, s10, s4
	s_and_not1_b32 s5, s5, exec_lo
	s_and_b32 s10, s6, exec_lo
	s_delay_alu instid0(SALU_CYCLE_1)
	s_or_b32 s5, s5, s10
	s_and_not1_b32 exec_lo, exec_lo, s4
	s_cbranch_execz .LBB8_1426
.LBB8_1244:                             ; =>This Inner Loop Header: Depth=1
	s_add_i32 s7, s7, 1
                                        ; implicit-def: $sgpr11
	s_delay_alu instid0(SALU_CYCLE_1) | instskip(SKIP_1) | instid1(SALU_CYCLE_1)
	s_cmpk_lg_i32 s7, 0x2710
	s_cselect_b32 s10, -1, 0
	s_and_b32 vcc_lo, exec_lo, s10
	s_cbranch_vccz .LBB8_1248
.LBB8_1245:                             ;   in Loop: Header=BB8_1244 Depth=1
	s_and_not1_b32 s6, s6, exec_lo
	s_and_b32 s12, s11, exec_lo
	s_mov_b32 s11, -1
	s_or_b32 s6, s6, s12
	s_and_saveexec_b32 s12, s10
	s_cbranch_execz .LBB8_1243
; %bb.1246:                             ;   in Loop: Header=BB8_1244 Depth=1
	s_sleep 1
	s_cbranch_execnz .LBB8_1270
; %bb.1247:                             ;   in Loop: Header=BB8_1244 Depth=1
	ds_load_b64 v[2:3], v0
	s_and_not1_b32 s6, s6, exec_lo
	s_waitcnt lgkmcnt(0)
	v_cmp_ge_u64_e32 vcc_lo, v[2:3], v[0:1]
	s_or_not1_b32 s11, vcc_lo, exec_lo
	s_branch .LBB8_1243
.LBB8_1248:                             ;   in Loop: Header=BB8_1244 Depth=1
	s_cbranch_execnz .LBB8_1286
; %bb.1249:                             ;   in Loop: Header=BB8_1244 Depth=1
	ds_load_b64 v[2:3], v0
	s_and_not1_b32 s10, s10, exec_lo
	s_mov_b32 s7, 0
	s_mov_b32 s11, -1
	s_waitcnt lgkmcnt(0)
	flat_load_b32 v2, v[2:3] glc
	s_waitcnt vmcnt(0) lgkmcnt(0)
	buffer_gl1_inv
	buffer_gl0_inv
	v_cmp_eq_u32_e32 vcc_lo, 0, v2
	s_and_b32 s12, vcc_lo, exec_lo
	s_delay_alu instid0(SALU_CYCLE_1)
	s_or_b32 s10, s10, s12
	s_branch .LBB8_1245
.LBB8_1250:
	s_trap 2
	s_sendmsg_rtn_b32 s0, sendmsg(MSG_RTN_GET_DOORBELL)
	s_mov_b32 ttmp2, m0
	s_waitcnt lgkmcnt(0)
	s_and_b32 s0, s0, 0x3ff
	s_delay_alu instid0(SALU_CYCLE_1) | instskip(NEXT) | instid1(SALU_CYCLE_1)
	s_bitset1_b32 s0, 10
	s_mov_b32 m0, s0
	s_sendmsg sendmsg(MSG_INTERRUPT)
	s_mov_b32 m0, ttmp2
.LBB8_1251:                             ; =>This Inner Loop Header: Depth=1
	s_sethalt 5
	s_branch .LBB8_1251
.LBB8_1252:
	s_trap 2
	s_sendmsg_rtn_b32 s0, sendmsg(MSG_RTN_GET_DOORBELL)
	s_mov_b32 ttmp2, m0
	s_waitcnt lgkmcnt(0)
	s_and_b32 s0, s0, 0x3ff
	s_delay_alu instid0(SALU_CYCLE_1) | instskip(NEXT) | instid1(SALU_CYCLE_1)
	s_bitset1_b32 s0, 10
	s_mov_b32 m0, s0
	s_sendmsg sendmsg(MSG_INTERRUPT)
	s_mov_b32 m0, ttmp2
.LBB8_1253:                             ; =>This Inner Loop Header: Depth=1
	s_sethalt 5
	s_branch .LBB8_1253
.LBB8_1254:
	s_trap 2
	s_sendmsg_rtn_b32 s0, sendmsg(MSG_RTN_GET_DOORBELL)
	s_mov_b32 ttmp2, m0
	s_waitcnt lgkmcnt(0)
	s_and_b32 s0, s0, 0x3ff
	s_delay_alu instid0(SALU_CYCLE_1) | instskip(NEXT) | instid1(SALU_CYCLE_1)
	s_bitset1_b32 s0, 10
	s_mov_b32 m0, s0
	s_sendmsg sendmsg(MSG_INTERRUPT)
	s_mov_b32 m0, ttmp2
.LBB8_1255:                             ; =>This Inner Loop Header: Depth=1
	s_sethalt 5
	s_branch .LBB8_1255
.LBB8_1256:
	s_trap 2
	s_sendmsg_rtn_b32 s0, sendmsg(MSG_RTN_GET_DOORBELL)
	s_mov_b32 ttmp2, m0
	s_waitcnt lgkmcnt(0)
	s_and_b32 s0, s0, 0x3ff
	s_delay_alu instid0(SALU_CYCLE_1) | instskip(NEXT) | instid1(SALU_CYCLE_1)
	s_bitset1_b32 s0, 10
	s_mov_b32 m0, s0
	s_sendmsg sendmsg(MSG_INTERRUPT)
	s_mov_b32 m0, ttmp2
.LBB8_1257:                             ; =>This Inner Loop Header: Depth=1
	s_sethalt 5
	s_branch .LBB8_1257
.LBB8_1258:
	s_trap 2
	s_sendmsg_rtn_b32 s0, sendmsg(MSG_RTN_GET_DOORBELL)
	s_mov_b32 ttmp2, m0
	s_waitcnt lgkmcnt(0)
	s_and_b32 s0, s0, 0x3ff
	s_delay_alu instid0(SALU_CYCLE_1) | instskip(NEXT) | instid1(SALU_CYCLE_1)
	s_bitset1_b32 s0, 10
	s_mov_b32 m0, s0
	s_sendmsg sendmsg(MSG_INTERRUPT)
	s_mov_b32 m0, ttmp2
.LBB8_1259:                             ; =>This Inner Loop Header: Depth=1
	s_sethalt 5
	s_branch .LBB8_1259
.LBB8_1260:
	s_trap 2
	s_sendmsg_rtn_b32 s0, sendmsg(MSG_RTN_GET_DOORBELL)
	s_mov_b32 ttmp2, m0
	s_waitcnt lgkmcnt(0)
	s_and_b32 s0, s0, 0x3ff
	s_delay_alu instid0(SALU_CYCLE_1) | instskip(NEXT) | instid1(SALU_CYCLE_1)
	s_bitset1_b32 s0, 10
	s_mov_b32 m0, s0
	s_sendmsg sendmsg(MSG_INTERRUPT)
	s_mov_b32 m0, ttmp2
.LBB8_1261:                             ; =>This Inner Loop Header: Depth=1
	s_sethalt 5
	s_branch .LBB8_1261
.LBB8_1262:
	s_trap 2
	s_sendmsg_rtn_b32 s0, sendmsg(MSG_RTN_GET_DOORBELL)
	s_mov_b32 ttmp2, m0
	s_waitcnt lgkmcnt(0)
	s_and_b32 s0, s0, 0x3ff
	s_delay_alu instid0(SALU_CYCLE_1) | instskip(NEXT) | instid1(SALU_CYCLE_1)
	s_bitset1_b32 s0, 10
	s_mov_b32 m0, s0
	s_sendmsg sendmsg(MSG_INTERRUPT)
	s_mov_b32 m0, ttmp2
.LBB8_1263:                             ; =>This Inner Loop Header: Depth=1
	s_sethalt 5
	s_branch .LBB8_1263
.LBB8_1264:
	s_trap 2
	s_sendmsg_rtn_b32 s0, sendmsg(MSG_RTN_GET_DOORBELL)
	s_mov_b32 ttmp2, m0
	s_waitcnt lgkmcnt(0)
	s_and_b32 s0, s0, 0x3ff
	s_delay_alu instid0(SALU_CYCLE_1) | instskip(NEXT) | instid1(SALU_CYCLE_1)
	s_bitset1_b32 s0, 10
	s_mov_b32 m0, s0
	s_sendmsg sendmsg(MSG_INTERRUPT)
	s_mov_b32 m0, ttmp2
.LBB8_1265:                             ; =>This Inner Loop Header: Depth=1
	s_sethalt 5
	s_branch .LBB8_1265
.LBB8_1266:
	s_trap 2
	s_sendmsg_rtn_b32 s0, sendmsg(MSG_RTN_GET_DOORBELL)
	s_mov_b32 ttmp2, m0
	s_waitcnt lgkmcnt(0)
	s_and_b32 s0, s0, 0x3ff
	s_delay_alu instid0(SALU_CYCLE_1) | instskip(NEXT) | instid1(SALU_CYCLE_1)
	s_bitset1_b32 s0, 10
	s_mov_b32 m0, s0
	s_sendmsg sendmsg(MSG_INTERRUPT)
	s_mov_b32 m0, ttmp2
.LBB8_1267:                             ; =>This Inner Loop Header: Depth=1
	s_sethalt 5
	s_branch .LBB8_1267
.LBB8_1268:
	s_trap 2
	s_sendmsg_rtn_b32 s0, sendmsg(MSG_RTN_GET_DOORBELL)
	s_mov_b32 ttmp2, m0
	s_waitcnt lgkmcnt(0)
	s_and_b32 s0, s0, 0x3ff
	s_delay_alu instid0(SALU_CYCLE_1) | instskip(NEXT) | instid1(SALU_CYCLE_1)
	s_bitset1_b32 s0, 10
	s_mov_b32 m0, s0
	s_sendmsg sendmsg(MSG_INTERRUPT)
	s_mov_b32 m0, ttmp2
.LBB8_1269:                             ; =>This Inner Loop Header: Depth=1
	s_sethalt 5
	s_branch .LBB8_1269
.LBB8_1270:
	s_trap 2
	s_sendmsg_rtn_b32 s0, sendmsg(MSG_RTN_GET_DOORBELL)
	s_mov_b32 ttmp2, m0
	s_waitcnt lgkmcnt(0)
	s_and_b32 s0, s0, 0x3ff
	s_delay_alu instid0(SALU_CYCLE_1) | instskip(NEXT) | instid1(SALU_CYCLE_1)
	s_bitset1_b32 s0, 10
	s_mov_b32 m0, s0
	s_sendmsg sendmsg(MSG_INTERRUPT)
	s_mov_b32 m0, ttmp2
.LBB8_1271:                             ; =>This Inner Loop Header: Depth=1
	s_sethalt 5
	s_branch .LBB8_1271
.LBB8_1272:
	s_trap 2
	s_sendmsg_rtn_b32 s0, sendmsg(MSG_RTN_GET_DOORBELL)
	s_mov_b32 ttmp2, m0
	s_waitcnt lgkmcnt(0)
	s_and_b32 s0, s0, 0x3ff
	s_delay_alu instid0(SALU_CYCLE_1) | instskip(NEXT) | instid1(SALU_CYCLE_1)
	s_bitset1_b32 s0, 10
	s_mov_b32 m0, s0
	s_sendmsg sendmsg(MSG_INTERRUPT)
	s_mov_b32 m0, ttmp2
.LBB8_1273:                             ; =>This Inner Loop Header: Depth=1
	s_sethalt 5
	s_branch .LBB8_1273
.LBB8_1274:
	s_trap 2
	s_sendmsg_rtn_b32 s0, sendmsg(MSG_RTN_GET_DOORBELL)
	s_mov_b32 ttmp2, m0
	s_waitcnt lgkmcnt(0)
	s_and_b32 s0, s0, 0x3ff
	s_delay_alu instid0(SALU_CYCLE_1) | instskip(NEXT) | instid1(SALU_CYCLE_1)
	s_bitset1_b32 s0, 10
	s_mov_b32 m0, s0
	s_sendmsg sendmsg(MSG_INTERRUPT)
	s_mov_b32 m0, ttmp2
.LBB8_1275:                             ; =>This Inner Loop Header: Depth=1
	s_sethalt 5
	s_branch .LBB8_1275
.LBB8_1276:
	s_trap 2
	s_sendmsg_rtn_b32 s0, sendmsg(MSG_RTN_GET_DOORBELL)
	s_mov_b32 ttmp2, m0
	s_waitcnt lgkmcnt(0)
	s_and_b32 s0, s0, 0x3ff
	s_delay_alu instid0(SALU_CYCLE_1) | instskip(NEXT) | instid1(SALU_CYCLE_1)
	s_bitset1_b32 s0, 10
	s_mov_b32 m0, s0
	s_sendmsg sendmsg(MSG_INTERRUPT)
	s_mov_b32 m0, ttmp2
.LBB8_1277:                             ; =>This Inner Loop Header: Depth=1
	s_sethalt 5
	s_branch .LBB8_1277
.LBB8_1278:
	s_trap 2
	s_sendmsg_rtn_b32 s0, sendmsg(MSG_RTN_GET_DOORBELL)
	s_mov_b32 ttmp2, m0
	s_waitcnt lgkmcnt(0)
	s_and_b32 s0, s0, 0x3ff
	s_delay_alu instid0(SALU_CYCLE_1) | instskip(NEXT) | instid1(SALU_CYCLE_1)
	s_bitset1_b32 s0, 10
	s_mov_b32 m0, s0
	s_sendmsg sendmsg(MSG_INTERRUPT)
	s_mov_b32 m0, ttmp2
.LBB8_1279:                             ; =>This Inner Loop Header: Depth=1
	s_sethalt 5
	s_branch .LBB8_1279
.LBB8_1280:
	s_trap 2
	s_sendmsg_rtn_b32 s0, sendmsg(MSG_RTN_GET_DOORBELL)
	s_mov_b32 ttmp2, m0
	s_waitcnt lgkmcnt(0)
	s_and_b32 s0, s0, 0x3ff
	s_delay_alu instid0(SALU_CYCLE_1) | instskip(NEXT) | instid1(SALU_CYCLE_1)
	s_bitset1_b32 s0, 10
	s_mov_b32 m0, s0
	s_sendmsg sendmsg(MSG_INTERRUPT)
	s_mov_b32 m0, ttmp2
.LBB8_1281:                             ; =>This Inner Loop Header: Depth=1
	s_sethalt 5
	s_branch .LBB8_1281
.LBB8_1282:
	s_trap 2
	s_sendmsg_rtn_b32 s0, sendmsg(MSG_RTN_GET_DOORBELL)
	s_mov_b32 ttmp2, m0
	s_waitcnt lgkmcnt(0)
	s_and_b32 s0, s0, 0x3ff
	s_delay_alu instid0(SALU_CYCLE_1) | instskip(NEXT) | instid1(SALU_CYCLE_1)
	s_bitset1_b32 s0, 10
	s_mov_b32 m0, s0
	s_sendmsg sendmsg(MSG_INTERRUPT)
	s_mov_b32 m0, ttmp2
.LBB8_1283:                             ; =>This Inner Loop Header: Depth=1
	s_sethalt 5
	s_branch .LBB8_1283
.LBB8_1284:
	s_trap 2
	s_sendmsg_rtn_b32 s0, sendmsg(MSG_RTN_GET_DOORBELL)
	s_mov_b32 ttmp2, m0
	s_waitcnt lgkmcnt(0)
	s_and_b32 s0, s0, 0x3ff
	s_delay_alu instid0(SALU_CYCLE_1) | instskip(NEXT) | instid1(SALU_CYCLE_1)
	s_bitset1_b32 s0, 10
	s_mov_b32 m0, s0
	s_sendmsg sendmsg(MSG_INTERRUPT)
	s_mov_b32 m0, ttmp2
.LBB8_1285:                             ; =>This Inner Loop Header: Depth=1
	s_sethalt 5
	s_branch .LBB8_1285
.LBB8_1286:
	s_trap 2
	s_sendmsg_rtn_b32 s0, sendmsg(MSG_RTN_GET_DOORBELL)
	s_mov_b32 ttmp2, m0
	s_waitcnt lgkmcnt(0)
	s_and_b32 s0, s0, 0x3ff
	s_delay_alu instid0(SALU_CYCLE_1) | instskip(NEXT) | instid1(SALU_CYCLE_1)
	s_bitset1_b32 s0, 10
	s_mov_b32 m0, s0
	s_sendmsg sendmsg(MSG_INTERRUPT)
	s_mov_b32 m0, ttmp2
.LBB8_1287:                             ; =>This Inner Loop Header: Depth=1
	s_sethalt 5
	s_branch .LBB8_1287
.LBB8_1288:
	s_trap 2
	s_sendmsg_rtn_b32 s0, sendmsg(MSG_RTN_GET_DOORBELL)
	s_mov_b32 ttmp2, m0
	s_waitcnt lgkmcnt(0)
	s_and_b32 s0, s0, 0x3ff
	s_delay_alu instid0(SALU_CYCLE_1) | instskip(NEXT) | instid1(SALU_CYCLE_1)
	s_bitset1_b32 s0, 10
	s_mov_b32 m0, s0
	s_sendmsg sendmsg(MSG_INTERRUPT)
	s_mov_b32 m0, ttmp2
.LBB8_1289:                             ; =>This Inner Loop Header: Depth=1
	s_sethalt 5
	s_branch .LBB8_1289
.LBB8_1290:
	s_trap 2
	s_sendmsg_rtn_b32 s0, sendmsg(MSG_RTN_GET_DOORBELL)
	s_mov_b32 ttmp2, m0
	s_waitcnt lgkmcnt(0)
	s_and_b32 s0, s0, 0x3ff
	s_delay_alu instid0(SALU_CYCLE_1) | instskip(NEXT) | instid1(SALU_CYCLE_1)
	s_bitset1_b32 s0, 10
	s_mov_b32 m0, s0
	s_sendmsg sendmsg(MSG_INTERRUPT)
	s_mov_b32 m0, ttmp2
.LBB8_1291:                             ; =>This Inner Loop Header: Depth=1
	s_sethalt 5
	s_branch .LBB8_1291
.LBB8_1292:
	s_trap 2
	s_sendmsg_rtn_b32 s0, sendmsg(MSG_RTN_GET_DOORBELL)
	s_mov_b32 ttmp2, m0
	s_waitcnt lgkmcnt(0)
	s_and_b32 s0, s0, 0x3ff
	s_delay_alu instid0(SALU_CYCLE_1) | instskip(NEXT) | instid1(SALU_CYCLE_1)
	s_bitset1_b32 s0, 10
	s_mov_b32 m0, s0
	s_sendmsg sendmsg(MSG_INTERRUPT)
	s_mov_b32 m0, ttmp2
.LBB8_1293:                             ; =>This Inner Loop Header: Depth=1
	s_sethalt 5
	s_branch .LBB8_1293
.LBB8_1294:
	s_trap 2
	s_sendmsg_rtn_b32 s0, sendmsg(MSG_RTN_GET_DOORBELL)
	s_mov_b32 ttmp2, m0
	s_waitcnt lgkmcnt(0)
	s_and_b32 s0, s0, 0x3ff
	s_delay_alu instid0(SALU_CYCLE_1) | instskip(NEXT) | instid1(SALU_CYCLE_1)
	s_bitset1_b32 s0, 10
	s_mov_b32 m0, s0
	s_sendmsg sendmsg(MSG_INTERRUPT)
	s_mov_b32 m0, ttmp2
.LBB8_1295:                             ; =>This Inner Loop Header: Depth=1
	s_sethalt 5
	s_branch .LBB8_1295
.LBB8_1296:
	s_trap 2
	s_sendmsg_rtn_b32 s0, sendmsg(MSG_RTN_GET_DOORBELL)
	s_mov_b32 ttmp2, m0
	s_waitcnt lgkmcnt(0)
	s_and_b32 s0, s0, 0x3ff
	s_delay_alu instid0(SALU_CYCLE_1) | instskip(NEXT) | instid1(SALU_CYCLE_1)
	s_bitset1_b32 s0, 10
	s_mov_b32 m0, s0
	s_sendmsg sendmsg(MSG_INTERRUPT)
	s_mov_b32 m0, ttmp2
.LBB8_1297:                             ; =>This Inner Loop Header: Depth=1
	s_sethalt 5
	s_branch .LBB8_1297
.LBB8_1298:
	s_trap 2
	s_sendmsg_rtn_b32 s0, sendmsg(MSG_RTN_GET_DOORBELL)
	s_mov_b32 ttmp2, m0
	s_waitcnt lgkmcnt(0)
	s_and_b32 s0, s0, 0x3ff
	s_delay_alu instid0(SALU_CYCLE_1) | instskip(NEXT) | instid1(SALU_CYCLE_1)
	s_bitset1_b32 s0, 10
	s_mov_b32 m0, s0
	s_sendmsg sendmsg(MSG_INTERRUPT)
	s_mov_b32 m0, ttmp2
.LBB8_1299:                             ; =>This Inner Loop Header: Depth=1
	s_sethalt 5
	s_branch .LBB8_1299
.LBB8_1300:
	s_trap 2
	s_sendmsg_rtn_b32 s0, sendmsg(MSG_RTN_GET_DOORBELL)
	s_mov_b32 ttmp2, m0
	s_waitcnt lgkmcnt(0)
	s_and_b32 s0, s0, 0x3ff
	s_delay_alu instid0(SALU_CYCLE_1) | instskip(NEXT) | instid1(SALU_CYCLE_1)
	s_bitset1_b32 s0, 10
	s_mov_b32 m0, s0
	s_sendmsg sendmsg(MSG_INTERRUPT)
	s_mov_b32 m0, ttmp2
.LBB8_1301:                             ; =>This Inner Loop Header: Depth=1
	s_sethalt 5
	s_branch .LBB8_1301
.LBB8_1302:
	s_trap 2
	s_sendmsg_rtn_b32 s0, sendmsg(MSG_RTN_GET_DOORBELL)
	s_mov_b32 ttmp2, m0
	s_waitcnt lgkmcnt(0)
	s_and_b32 s0, s0, 0x3ff
	s_delay_alu instid0(SALU_CYCLE_1) | instskip(NEXT) | instid1(SALU_CYCLE_1)
	s_bitset1_b32 s0, 10
	s_mov_b32 m0, s0
	s_sendmsg sendmsg(MSG_INTERRUPT)
	s_mov_b32 m0, ttmp2
.LBB8_1303:                             ; =>This Inner Loop Header: Depth=1
	s_sethalt 5
	s_branch .LBB8_1303
.LBB8_1304:
	s_trap 2
	s_sendmsg_rtn_b32 s0, sendmsg(MSG_RTN_GET_DOORBELL)
	s_mov_b32 ttmp2, m0
	s_waitcnt lgkmcnt(0)
	s_and_b32 s0, s0, 0x3ff
	s_delay_alu instid0(SALU_CYCLE_1) | instskip(NEXT) | instid1(SALU_CYCLE_1)
	s_bitset1_b32 s0, 10
	s_mov_b32 m0, s0
	s_sendmsg sendmsg(MSG_INTERRUPT)
	s_mov_b32 m0, ttmp2
.LBB8_1305:                             ; =>This Inner Loop Header: Depth=1
	s_sethalt 5
	s_branch .LBB8_1305
.LBB8_1306:
	s_trap 2
	s_sendmsg_rtn_b32 s0, sendmsg(MSG_RTN_GET_DOORBELL)
	s_mov_b32 ttmp2, m0
	s_waitcnt lgkmcnt(0)
	s_and_b32 s0, s0, 0x3ff
	s_delay_alu instid0(SALU_CYCLE_1) | instskip(NEXT) | instid1(SALU_CYCLE_1)
	s_bitset1_b32 s0, 10
	s_mov_b32 m0, s0
	s_sendmsg sendmsg(MSG_INTERRUPT)
	s_mov_b32 m0, ttmp2
.LBB8_1307:                             ; =>This Inner Loop Header: Depth=1
	s_sethalt 5
	s_branch .LBB8_1307
.LBB8_1308:
	s_trap 2
	s_sendmsg_rtn_b32 s0, sendmsg(MSG_RTN_GET_DOORBELL)
	s_mov_b32 ttmp2, m0
	s_waitcnt lgkmcnt(0)
	s_and_b32 s0, s0, 0x3ff
	s_delay_alu instid0(SALU_CYCLE_1) | instskip(NEXT) | instid1(SALU_CYCLE_1)
	s_bitset1_b32 s0, 10
	s_mov_b32 m0, s0
	s_sendmsg sendmsg(MSG_INTERRUPT)
	s_mov_b32 m0, ttmp2
.LBB8_1309:                             ; =>This Inner Loop Header: Depth=1
	s_sethalt 5
	s_branch .LBB8_1309
.LBB8_1310:
	s_trap 2
	s_sendmsg_rtn_b32 s0, sendmsg(MSG_RTN_GET_DOORBELL)
	s_mov_b32 ttmp2, m0
	s_waitcnt lgkmcnt(0)
	s_and_b32 s0, s0, 0x3ff
	s_delay_alu instid0(SALU_CYCLE_1) | instskip(NEXT) | instid1(SALU_CYCLE_1)
	s_bitset1_b32 s0, 10
	s_mov_b32 m0, s0
	s_sendmsg sendmsg(MSG_INTERRUPT)
	s_mov_b32 m0, ttmp2
.LBB8_1311:                             ; =>This Inner Loop Header: Depth=1
	s_sethalt 5
	s_branch .LBB8_1311
.LBB8_1312:
	s_trap 2
	s_sendmsg_rtn_b32 s0, sendmsg(MSG_RTN_GET_DOORBELL)
	s_mov_b32 ttmp2, m0
	s_waitcnt lgkmcnt(0)
	s_and_b32 s0, s0, 0x3ff
	s_delay_alu instid0(SALU_CYCLE_1) | instskip(NEXT) | instid1(SALU_CYCLE_1)
	s_bitset1_b32 s0, 10
	s_mov_b32 m0, s0
	s_sendmsg sendmsg(MSG_INTERRUPT)
	s_mov_b32 m0, ttmp2
.LBB8_1313:                             ; =>This Inner Loop Header: Depth=1
	s_sethalt 5
	s_branch .LBB8_1313
.LBB8_1314:
	s_trap 2
	s_sendmsg_rtn_b32 s0, sendmsg(MSG_RTN_GET_DOORBELL)
	s_mov_b32 ttmp2, m0
	s_waitcnt lgkmcnt(0)
	s_and_b32 s0, s0, 0x3ff
	s_delay_alu instid0(SALU_CYCLE_1) | instskip(NEXT) | instid1(SALU_CYCLE_1)
	s_bitset1_b32 s0, 10
	s_mov_b32 m0, s0
	s_sendmsg sendmsg(MSG_INTERRUPT)
	s_mov_b32 m0, ttmp2
.LBB8_1315:                             ; =>This Inner Loop Header: Depth=1
	s_sethalt 5
	s_branch .LBB8_1315
.LBB8_1316:
	s_trap 2
	s_sendmsg_rtn_b32 s0, sendmsg(MSG_RTN_GET_DOORBELL)
	s_mov_b32 ttmp2, m0
	s_waitcnt lgkmcnt(0)
	s_and_b32 s0, s0, 0x3ff
	s_delay_alu instid0(SALU_CYCLE_1) | instskip(NEXT) | instid1(SALU_CYCLE_1)
	s_bitset1_b32 s0, 10
	s_mov_b32 m0, s0
	s_sendmsg sendmsg(MSG_INTERRUPT)
	s_mov_b32 m0, ttmp2
.LBB8_1317:                             ; =>This Inner Loop Header: Depth=1
	s_sethalt 5
	s_branch .LBB8_1317
.LBB8_1318:
	s_trap 2
	s_sendmsg_rtn_b32 s0, sendmsg(MSG_RTN_GET_DOORBELL)
	s_mov_b32 ttmp2, m0
	s_waitcnt lgkmcnt(0)
	s_and_b32 s0, s0, 0x3ff
	s_delay_alu instid0(SALU_CYCLE_1) | instskip(NEXT) | instid1(SALU_CYCLE_1)
	s_bitset1_b32 s0, 10
	s_mov_b32 m0, s0
	s_sendmsg sendmsg(MSG_INTERRUPT)
	s_mov_b32 m0, ttmp2
.LBB8_1319:                             ; =>This Inner Loop Header: Depth=1
	s_sethalt 5
	s_branch .LBB8_1319
.LBB8_1320:
	s_trap 2
	s_sendmsg_rtn_b32 s0, sendmsg(MSG_RTN_GET_DOORBELL)
	s_mov_b32 ttmp2, m0
	s_waitcnt lgkmcnt(0)
	s_and_b32 s0, s0, 0x3ff
	s_delay_alu instid0(SALU_CYCLE_1) | instskip(NEXT) | instid1(SALU_CYCLE_1)
	s_bitset1_b32 s0, 10
	s_mov_b32 m0, s0
	s_sendmsg sendmsg(MSG_INTERRUPT)
	s_mov_b32 m0, ttmp2
.LBB8_1321:                             ; =>This Inner Loop Header: Depth=1
	s_sethalt 5
	s_branch .LBB8_1321
.LBB8_1322:
	s_trap 2
	s_sendmsg_rtn_b32 s0, sendmsg(MSG_RTN_GET_DOORBELL)
	s_mov_b32 ttmp2, m0
	s_waitcnt lgkmcnt(0)
	s_and_b32 s0, s0, 0x3ff
	s_delay_alu instid0(SALU_CYCLE_1) | instskip(NEXT) | instid1(SALU_CYCLE_1)
	s_bitset1_b32 s0, 10
	s_mov_b32 m0, s0
	s_sendmsg sendmsg(MSG_INTERRUPT)
	s_mov_b32 m0, ttmp2
.LBB8_1323:                             ; =>This Inner Loop Header: Depth=1
	s_sethalt 5
	s_branch .LBB8_1323
.LBB8_1324:
	s_trap 2
	s_sendmsg_rtn_b32 s0, sendmsg(MSG_RTN_GET_DOORBELL)
	s_mov_b32 ttmp2, m0
	s_waitcnt lgkmcnt(0)
	s_and_b32 s0, s0, 0x3ff
	s_delay_alu instid0(SALU_CYCLE_1) | instskip(NEXT) | instid1(SALU_CYCLE_1)
	s_bitset1_b32 s0, 10
	s_mov_b32 m0, s0
	s_sendmsg sendmsg(MSG_INTERRUPT)
	s_mov_b32 m0, ttmp2
.LBB8_1325:                             ; =>This Inner Loop Header: Depth=1
	s_sethalt 5
	s_branch .LBB8_1325
.LBB8_1326:
	s_trap 2
	s_sendmsg_rtn_b32 s0, sendmsg(MSG_RTN_GET_DOORBELL)
	s_mov_b32 ttmp2, m0
	s_waitcnt lgkmcnt(0)
	s_and_b32 s0, s0, 0x3ff
	s_delay_alu instid0(SALU_CYCLE_1) | instskip(NEXT) | instid1(SALU_CYCLE_1)
	s_bitset1_b32 s0, 10
	s_mov_b32 m0, s0
	s_sendmsg sendmsg(MSG_INTERRUPT)
	s_mov_b32 m0, ttmp2
.LBB8_1327:                             ; =>This Inner Loop Header: Depth=1
	s_sethalt 5
	s_branch .LBB8_1327
.LBB8_1328:
	s_trap 2
	s_sendmsg_rtn_b32 s0, sendmsg(MSG_RTN_GET_DOORBELL)
	s_mov_b32 ttmp2, m0
	s_waitcnt lgkmcnt(0)
	s_and_b32 s0, s0, 0x3ff
	s_delay_alu instid0(SALU_CYCLE_1) | instskip(NEXT) | instid1(SALU_CYCLE_1)
	s_bitset1_b32 s0, 10
	s_mov_b32 m0, s0
	s_sendmsg sendmsg(MSG_INTERRUPT)
	s_mov_b32 m0, ttmp2
.LBB8_1329:                             ; =>This Inner Loop Header: Depth=1
	s_sethalt 5
	s_branch .LBB8_1329
.LBB8_1330:
	s_trap 2
	s_sendmsg_rtn_b32 s0, sendmsg(MSG_RTN_GET_DOORBELL)
	s_mov_b32 ttmp2, m0
	s_waitcnt lgkmcnt(0)
	s_and_b32 s0, s0, 0x3ff
	s_delay_alu instid0(SALU_CYCLE_1) | instskip(NEXT) | instid1(SALU_CYCLE_1)
	s_bitset1_b32 s0, 10
	s_mov_b32 m0, s0
	s_sendmsg sendmsg(MSG_INTERRUPT)
	s_mov_b32 m0, ttmp2
.LBB8_1331:                             ; =>This Inner Loop Header: Depth=1
	s_sethalt 5
	s_branch .LBB8_1331
.LBB8_1332:
	s_trap 2
	s_sendmsg_rtn_b32 s0, sendmsg(MSG_RTN_GET_DOORBELL)
	s_mov_b32 ttmp2, m0
	s_waitcnt lgkmcnt(0)
	s_and_b32 s0, s0, 0x3ff
	s_delay_alu instid0(SALU_CYCLE_1) | instskip(NEXT) | instid1(SALU_CYCLE_1)
	s_bitset1_b32 s0, 10
	s_mov_b32 m0, s0
	s_sendmsg sendmsg(MSG_INTERRUPT)
	s_mov_b32 m0, ttmp2
.LBB8_1333:                             ; =>This Inner Loop Header: Depth=1
	s_sethalt 5
	s_branch .LBB8_1333
.LBB8_1334:
	s_trap 2
	s_sendmsg_rtn_b32 s0, sendmsg(MSG_RTN_GET_DOORBELL)
	s_mov_b32 ttmp2, m0
	s_waitcnt lgkmcnt(0)
	s_and_b32 s0, s0, 0x3ff
	s_delay_alu instid0(SALU_CYCLE_1) | instskip(NEXT) | instid1(SALU_CYCLE_1)
	s_bitset1_b32 s0, 10
	s_mov_b32 m0, s0
	s_sendmsg sendmsg(MSG_INTERRUPT)
	s_mov_b32 m0, ttmp2
.LBB8_1335:                             ; =>This Inner Loop Header: Depth=1
	s_sethalt 5
	s_branch .LBB8_1335
.LBB8_1336:
	s_trap 2
	s_sendmsg_rtn_b32 s0, sendmsg(MSG_RTN_GET_DOORBELL)
	s_mov_b32 ttmp2, m0
	s_waitcnt lgkmcnt(0)
	s_and_b32 s0, s0, 0x3ff
	s_delay_alu instid0(SALU_CYCLE_1) | instskip(NEXT) | instid1(SALU_CYCLE_1)
	s_bitset1_b32 s0, 10
	s_mov_b32 m0, s0
	s_sendmsg sendmsg(MSG_INTERRUPT)
	s_mov_b32 m0, ttmp2
.LBB8_1337:                             ; =>This Inner Loop Header: Depth=1
	s_sethalt 5
	s_branch .LBB8_1337
.LBB8_1338:
	s_trap 2
	s_sendmsg_rtn_b32 s0, sendmsg(MSG_RTN_GET_DOORBELL)
	s_mov_b32 ttmp2, m0
	s_waitcnt lgkmcnt(0)
	s_and_b32 s0, s0, 0x3ff
	s_delay_alu instid0(SALU_CYCLE_1) | instskip(NEXT) | instid1(SALU_CYCLE_1)
	s_bitset1_b32 s0, 10
	s_mov_b32 m0, s0
	s_sendmsg sendmsg(MSG_INTERRUPT)
	s_mov_b32 m0, ttmp2
.LBB8_1339:                             ; =>This Inner Loop Header: Depth=1
	s_sethalt 5
	s_branch .LBB8_1339
.LBB8_1340:
	s_trap 2
	s_sendmsg_rtn_b32 s0, sendmsg(MSG_RTN_GET_DOORBELL)
	s_mov_b32 ttmp2, m0
	s_waitcnt lgkmcnt(0)
	s_and_b32 s0, s0, 0x3ff
	s_delay_alu instid0(SALU_CYCLE_1) | instskip(NEXT) | instid1(SALU_CYCLE_1)
	s_bitset1_b32 s0, 10
	s_mov_b32 m0, s0
	s_sendmsg sendmsg(MSG_INTERRUPT)
	s_mov_b32 m0, ttmp2
.LBB8_1341:                             ; =>This Inner Loop Header: Depth=1
	s_sethalt 5
	s_branch .LBB8_1341
.LBB8_1342:
	s_trap 2
	s_sendmsg_rtn_b32 s0, sendmsg(MSG_RTN_GET_DOORBELL)
	s_mov_b32 ttmp2, m0
	s_waitcnt lgkmcnt(0)
	s_and_b32 s0, s0, 0x3ff
	s_delay_alu instid0(SALU_CYCLE_1) | instskip(NEXT) | instid1(SALU_CYCLE_1)
	s_bitset1_b32 s0, 10
	s_mov_b32 m0, s0
	s_sendmsg sendmsg(MSG_INTERRUPT)
	s_mov_b32 m0, ttmp2
.LBB8_1343:                             ; =>This Inner Loop Header: Depth=1
	s_sethalt 5
	s_branch .LBB8_1343
.LBB8_1344:
	s_trap 2
	s_sendmsg_rtn_b32 s0, sendmsg(MSG_RTN_GET_DOORBELL)
	s_mov_b32 ttmp2, m0
	s_waitcnt lgkmcnt(0)
	s_and_b32 s0, s0, 0x3ff
	s_delay_alu instid0(SALU_CYCLE_1) | instskip(NEXT) | instid1(SALU_CYCLE_1)
	s_bitset1_b32 s0, 10
	s_mov_b32 m0, s0
	s_sendmsg sendmsg(MSG_INTERRUPT)
	s_mov_b32 m0, ttmp2
.LBB8_1345:                             ; =>This Inner Loop Header: Depth=1
	s_sethalt 5
	s_branch .LBB8_1345
.LBB8_1346:
	s_trap 2
	s_sendmsg_rtn_b32 s0, sendmsg(MSG_RTN_GET_DOORBELL)
	s_mov_b32 ttmp2, m0
	s_waitcnt lgkmcnt(0)
	s_and_b32 s0, s0, 0x3ff
	s_delay_alu instid0(SALU_CYCLE_1) | instskip(NEXT) | instid1(SALU_CYCLE_1)
	s_bitset1_b32 s0, 10
	s_mov_b32 m0, s0
	s_sendmsg sendmsg(MSG_INTERRUPT)
	s_mov_b32 m0, ttmp2
.LBB8_1347:                             ; =>This Inner Loop Header: Depth=1
	s_sethalt 5
	s_branch .LBB8_1347
.LBB8_1348:
	s_trap 2
	s_sendmsg_rtn_b32 s0, sendmsg(MSG_RTN_GET_DOORBELL)
	s_mov_b32 ttmp2, m0
	s_waitcnt lgkmcnt(0)
	s_and_b32 s0, s0, 0x3ff
	s_delay_alu instid0(SALU_CYCLE_1) | instskip(NEXT) | instid1(SALU_CYCLE_1)
	s_bitset1_b32 s0, 10
	s_mov_b32 m0, s0
	s_sendmsg sendmsg(MSG_INTERRUPT)
	s_mov_b32 m0, ttmp2
.LBB8_1349:                             ; =>This Inner Loop Header: Depth=1
	s_sethalt 5
	s_branch .LBB8_1349
.LBB8_1350:
	s_trap 2
	s_sendmsg_rtn_b32 s0, sendmsg(MSG_RTN_GET_DOORBELL)
	s_mov_b32 ttmp2, m0
	s_waitcnt lgkmcnt(0)
	s_and_b32 s0, s0, 0x3ff
	s_delay_alu instid0(SALU_CYCLE_1) | instskip(NEXT) | instid1(SALU_CYCLE_1)
	s_bitset1_b32 s0, 10
	s_mov_b32 m0, s0
	s_sendmsg sendmsg(MSG_INTERRUPT)
	s_mov_b32 m0, ttmp2
.LBB8_1351:                             ; =>This Inner Loop Header: Depth=1
	s_sethalt 5
	s_branch .LBB8_1351
.LBB8_1352:
	s_trap 2
	s_sendmsg_rtn_b32 s0, sendmsg(MSG_RTN_GET_DOORBELL)
	s_mov_b32 ttmp2, m0
	s_waitcnt lgkmcnt(0)
	s_and_b32 s0, s0, 0x3ff
	s_delay_alu instid0(SALU_CYCLE_1) | instskip(NEXT) | instid1(SALU_CYCLE_1)
	s_bitset1_b32 s0, 10
	s_mov_b32 m0, s0
	s_sendmsg sendmsg(MSG_INTERRUPT)
	s_mov_b32 m0, ttmp2
.LBB8_1353:                             ; =>This Inner Loop Header: Depth=1
	s_sethalt 5
	s_branch .LBB8_1353
.LBB8_1354:
	s_trap 2
	s_sendmsg_rtn_b32 s0, sendmsg(MSG_RTN_GET_DOORBELL)
	s_mov_b32 ttmp2, m0
	s_waitcnt lgkmcnt(0)
	s_and_b32 s0, s0, 0x3ff
	s_delay_alu instid0(SALU_CYCLE_1) | instskip(NEXT) | instid1(SALU_CYCLE_1)
	s_bitset1_b32 s0, 10
	s_mov_b32 m0, s0
	s_sendmsg sendmsg(MSG_INTERRUPT)
	s_mov_b32 m0, ttmp2
.LBB8_1355:                             ; =>This Inner Loop Header: Depth=1
	s_sethalt 5
	s_branch .LBB8_1355
.LBB8_1356:
	s_trap 2
	s_sendmsg_rtn_b32 s0, sendmsg(MSG_RTN_GET_DOORBELL)
	s_mov_b32 ttmp2, m0
	s_waitcnt lgkmcnt(0)
	s_and_b32 s0, s0, 0x3ff
	s_delay_alu instid0(SALU_CYCLE_1) | instskip(NEXT) | instid1(SALU_CYCLE_1)
	s_bitset1_b32 s0, 10
	s_mov_b32 m0, s0
	s_sendmsg sendmsg(MSG_INTERRUPT)
	s_mov_b32 m0, ttmp2
.LBB8_1357:                             ; =>This Inner Loop Header: Depth=1
	s_sethalt 5
	s_branch .LBB8_1357
.LBB8_1358:
	s_trap 2
	s_sendmsg_rtn_b32 s0, sendmsg(MSG_RTN_GET_DOORBELL)
	s_mov_b32 ttmp2, m0
	s_waitcnt lgkmcnt(0)
	s_and_b32 s0, s0, 0x3ff
	s_delay_alu instid0(SALU_CYCLE_1) | instskip(NEXT) | instid1(SALU_CYCLE_1)
	s_bitset1_b32 s0, 10
	s_mov_b32 m0, s0
	s_sendmsg sendmsg(MSG_INTERRUPT)
	s_mov_b32 m0, ttmp2
.LBB8_1359:                             ; =>This Inner Loop Header: Depth=1
	s_sethalt 5
	s_branch .LBB8_1359
.LBB8_1360:
	s_trap 2
	s_sendmsg_rtn_b32 s0, sendmsg(MSG_RTN_GET_DOORBELL)
	s_mov_b32 ttmp2, m0
	s_waitcnt lgkmcnt(0)
	s_and_b32 s0, s0, 0x3ff
	s_delay_alu instid0(SALU_CYCLE_1) | instskip(NEXT) | instid1(SALU_CYCLE_1)
	s_bitset1_b32 s0, 10
	s_mov_b32 m0, s0
	s_sendmsg sendmsg(MSG_INTERRUPT)
	s_mov_b32 m0, ttmp2
.LBB8_1361:                             ; =>This Inner Loop Header: Depth=1
	s_sethalt 5
	s_branch .LBB8_1361
.LBB8_1362:
	s_trap 2
	s_sendmsg_rtn_b32 s0, sendmsg(MSG_RTN_GET_DOORBELL)
	s_mov_b32 ttmp2, m0
	s_waitcnt lgkmcnt(0)
	s_and_b32 s0, s0, 0x3ff
	s_delay_alu instid0(SALU_CYCLE_1) | instskip(NEXT) | instid1(SALU_CYCLE_1)
	s_bitset1_b32 s0, 10
	s_mov_b32 m0, s0
	s_sendmsg sendmsg(MSG_INTERRUPT)
	s_mov_b32 m0, ttmp2
.LBB8_1363:                             ; =>This Inner Loop Header: Depth=1
	s_sethalt 5
	s_branch .LBB8_1363
.LBB8_1364:
	s_trap 2
	s_sendmsg_rtn_b32 s0, sendmsg(MSG_RTN_GET_DOORBELL)
	s_mov_b32 ttmp2, m0
	s_waitcnt lgkmcnt(0)
	s_and_b32 s0, s0, 0x3ff
	s_delay_alu instid0(SALU_CYCLE_1) | instskip(NEXT) | instid1(SALU_CYCLE_1)
	s_bitset1_b32 s0, 10
	s_mov_b32 m0, s0
	s_sendmsg sendmsg(MSG_INTERRUPT)
	s_mov_b32 m0, ttmp2
.LBB8_1365:                             ; =>This Inner Loop Header: Depth=1
	s_sethalt 5
	s_branch .LBB8_1365
.LBB8_1366:
	s_trap 2
	s_sendmsg_rtn_b32 s0, sendmsg(MSG_RTN_GET_DOORBELL)
	s_mov_b32 ttmp2, m0
	s_waitcnt lgkmcnt(0)
	s_and_b32 s0, s0, 0x3ff
	s_delay_alu instid0(SALU_CYCLE_1) | instskip(NEXT) | instid1(SALU_CYCLE_1)
	s_bitset1_b32 s0, 10
	s_mov_b32 m0, s0
	s_sendmsg sendmsg(MSG_INTERRUPT)
	s_mov_b32 m0, ttmp2
.LBB8_1367:                             ; =>This Inner Loop Header: Depth=1
	s_sethalt 5
	s_branch .LBB8_1367
.LBB8_1368:
	s_trap 2
	s_sendmsg_rtn_b32 s0, sendmsg(MSG_RTN_GET_DOORBELL)
	s_mov_b32 ttmp2, m0
	s_waitcnt lgkmcnt(0)
	s_and_b32 s0, s0, 0x3ff
	s_delay_alu instid0(SALU_CYCLE_1) | instskip(NEXT) | instid1(SALU_CYCLE_1)
	s_bitset1_b32 s0, 10
	s_mov_b32 m0, s0
	s_sendmsg sendmsg(MSG_INTERRUPT)
	s_mov_b32 m0, ttmp2
.LBB8_1369:                             ; =>This Inner Loop Header: Depth=1
	s_sethalt 5
	s_branch .LBB8_1369
.LBB8_1370:
	s_trap 2
	s_sendmsg_rtn_b32 s0, sendmsg(MSG_RTN_GET_DOORBELL)
	s_mov_b32 ttmp2, m0
	s_waitcnt lgkmcnt(0)
	s_and_b32 s0, s0, 0x3ff
	s_delay_alu instid0(SALU_CYCLE_1) | instskip(NEXT) | instid1(SALU_CYCLE_1)
	s_bitset1_b32 s0, 10
	s_mov_b32 m0, s0
	s_sendmsg sendmsg(MSG_INTERRUPT)
	s_mov_b32 m0, ttmp2
.LBB8_1371:                             ; =>This Inner Loop Header: Depth=1
	s_sethalt 5
	s_branch .LBB8_1371
.LBB8_1372:
	s_trap 2
	s_sendmsg_rtn_b32 s0, sendmsg(MSG_RTN_GET_DOORBELL)
	s_mov_b32 ttmp2, m0
	s_waitcnt lgkmcnt(0)
	s_and_b32 s0, s0, 0x3ff
	s_delay_alu instid0(SALU_CYCLE_1) | instskip(NEXT) | instid1(SALU_CYCLE_1)
	s_bitset1_b32 s0, 10
	s_mov_b32 m0, s0
	s_sendmsg sendmsg(MSG_INTERRUPT)
	s_mov_b32 m0, ttmp2
.LBB8_1373:                             ; =>This Inner Loop Header: Depth=1
	s_sethalt 5
	s_branch .LBB8_1373
.LBB8_1374:
	s_trap 2
	s_sendmsg_rtn_b32 s0, sendmsg(MSG_RTN_GET_DOORBELL)
	s_mov_b32 ttmp2, m0
	s_waitcnt lgkmcnt(0)
	s_and_b32 s0, s0, 0x3ff
	s_delay_alu instid0(SALU_CYCLE_1) | instskip(NEXT) | instid1(SALU_CYCLE_1)
	s_bitset1_b32 s0, 10
	s_mov_b32 m0, s0
	s_sendmsg sendmsg(MSG_INTERRUPT)
	s_mov_b32 m0, ttmp2
.LBB8_1375:                             ; =>This Inner Loop Header: Depth=1
	s_sethalt 5
	s_branch .LBB8_1375
.LBB8_1376:
	s_trap 2
	s_sendmsg_rtn_b32 s0, sendmsg(MSG_RTN_GET_DOORBELL)
	s_mov_b32 ttmp2, m0
	s_waitcnt lgkmcnt(0)
	s_and_b32 s0, s0, 0x3ff
	s_delay_alu instid0(SALU_CYCLE_1) | instskip(NEXT) | instid1(SALU_CYCLE_1)
	s_bitset1_b32 s0, 10
	s_mov_b32 m0, s0
	s_sendmsg sendmsg(MSG_INTERRUPT)
	s_mov_b32 m0, ttmp2
.LBB8_1377:                             ; =>This Inner Loop Header: Depth=1
	s_sethalt 5
	s_branch .LBB8_1377
.LBB8_1378:
	s_trap 2
	s_sendmsg_rtn_b32 s0, sendmsg(MSG_RTN_GET_DOORBELL)
	s_mov_b32 ttmp2, m0
	s_waitcnt lgkmcnt(0)
	s_and_b32 s0, s0, 0x3ff
	s_delay_alu instid0(SALU_CYCLE_1) | instskip(NEXT) | instid1(SALU_CYCLE_1)
	s_bitset1_b32 s0, 10
	s_mov_b32 m0, s0
	s_sendmsg sendmsg(MSG_INTERRUPT)
	s_mov_b32 m0, ttmp2
.LBB8_1379:                             ; =>This Inner Loop Header: Depth=1
	s_sethalt 5
	s_branch .LBB8_1379
.LBB8_1380:
	s_trap 2
	s_sendmsg_rtn_b32 s0, sendmsg(MSG_RTN_GET_DOORBELL)
	s_mov_b32 ttmp2, m0
	s_waitcnt lgkmcnt(0)
	s_and_b32 s0, s0, 0x3ff
	s_delay_alu instid0(SALU_CYCLE_1) | instskip(NEXT) | instid1(SALU_CYCLE_1)
	s_bitset1_b32 s0, 10
	s_mov_b32 m0, s0
	s_sendmsg sendmsg(MSG_INTERRUPT)
	s_mov_b32 m0, ttmp2
.LBB8_1381:                             ; =>This Inner Loop Header: Depth=1
	s_sethalt 5
	s_branch .LBB8_1381
.LBB8_1382:
	s_trap 2
	s_sendmsg_rtn_b32 s0, sendmsg(MSG_RTN_GET_DOORBELL)
	s_mov_b32 ttmp2, m0
	s_waitcnt lgkmcnt(0)
	s_and_b32 s0, s0, 0x3ff
	s_delay_alu instid0(SALU_CYCLE_1) | instskip(NEXT) | instid1(SALU_CYCLE_1)
	s_bitset1_b32 s0, 10
	s_mov_b32 m0, s0
	s_sendmsg sendmsg(MSG_INTERRUPT)
	s_mov_b32 m0, ttmp2
.LBB8_1383:                             ; =>This Inner Loop Header: Depth=1
	s_sethalt 5
	s_branch .LBB8_1383
.LBB8_1384:
	s_trap 2
	s_sendmsg_rtn_b32 s0, sendmsg(MSG_RTN_GET_DOORBELL)
	s_mov_b32 ttmp2, m0
	s_waitcnt lgkmcnt(0)
	s_and_b32 s0, s0, 0x3ff
	s_delay_alu instid0(SALU_CYCLE_1) | instskip(NEXT) | instid1(SALU_CYCLE_1)
	s_bitset1_b32 s0, 10
	s_mov_b32 m0, s0
	s_sendmsg sendmsg(MSG_INTERRUPT)
	s_mov_b32 m0, ttmp2
.LBB8_1385:                             ; =>This Inner Loop Header: Depth=1
	s_sethalt 5
	s_branch .LBB8_1385
.LBB8_1386:
	s_trap 2
	s_sendmsg_rtn_b32 s0, sendmsg(MSG_RTN_GET_DOORBELL)
	s_mov_b32 ttmp2, m0
	s_waitcnt lgkmcnt(0)
	s_and_b32 s0, s0, 0x3ff
	s_delay_alu instid0(SALU_CYCLE_1) | instskip(NEXT) | instid1(SALU_CYCLE_1)
	s_bitset1_b32 s0, 10
	s_mov_b32 m0, s0
	s_sendmsg sendmsg(MSG_INTERRUPT)
	s_mov_b32 m0, ttmp2
.LBB8_1387:                             ; =>This Inner Loop Header: Depth=1
	s_sethalt 5
	s_branch .LBB8_1387
.LBB8_1388:
	s_trap 2
	s_sendmsg_rtn_b32 s0, sendmsg(MSG_RTN_GET_DOORBELL)
	s_mov_b32 ttmp2, m0
	s_waitcnt lgkmcnt(0)
	s_and_b32 s0, s0, 0x3ff
	s_delay_alu instid0(SALU_CYCLE_1) | instskip(NEXT) | instid1(SALU_CYCLE_1)
	s_bitset1_b32 s0, 10
	s_mov_b32 m0, s0
	s_sendmsg sendmsg(MSG_INTERRUPT)
	s_mov_b32 m0, ttmp2
.LBB8_1389:                             ; =>This Inner Loop Header: Depth=1
	s_sethalt 5
	s_branch .LBB8_1389
.LBB8_1390:
	s_trap 2
	s_sendmsg_rtn_b32 s0, sendmsg(MSG_RTN_GET_DOORBELL)
	s_mov_b32 ttmp2, m0
	s_waitcnt lgkmcnt(0)
	s_and_b32 s0, s0, 0x3ff
	s_delay_alu instid0(SALU_CYCLE_1) | instskip(NEXT) | instid1(SALU_CYCLE_1)
	s_bitset1_b32 s0, 10
	s_mov_b32 m0, s0
	s_sendmsg sendmsg(MSG_INTERRUPT)
	s_mov_b32 m0, ttmp2
.LBB8_1391:                             ; =>This Inner Loop Header: Depth=1
	s_sethalt 5
	s_branch .LBB8_1391
.LBB8_1392:
	s_trap 2
	s_sendmsg_rtn_b32 s0, sendmsg(MSG_RTN_GET_DOORBELL)
	s_mov_b32 ttmp2, m0
	s_waitcnt lgkmcnt(0)
	s_and_b32 s0, s0, 0x3ff
	s_delay_alu instid0(SALU_CYCLE_1) | instskip(NEXT) | instid1(SALU_CYCLE_1)
	s_bitset1_b32 s0, 10
	s_mov_b32 m0, s0
	s_sendmsg sendmsg(MSG_INTERRUPT)
	s_mov_b32 m0, ttmp2
.LBB8_1393:                             ; =>This Inner Loop Header: Depth=1
	s_sethalt 5
	s_branch .LBB8_1393
.LBB8_1394:
	s_trap 2
	s_sendmsg_rtn_b32 s0, sendmsg(MSG_RTN_GET_DOORBELL)
	s_mov_b32 ttmp2, m0
	s_waitcnt lgkmcnt(0)
	s_and_b32 s0, s0, 0x3ff
	s_delay_alu instid0(SALU_CYCLE_1) | instskip(NEXT) | instid1(SALU_CYCLE_1)
	s_bitset1_b32 s0, 10
	s_mov_b32 m0, s0
	s_sendmsg sendmsg(MSG_INTERRUPT)
	s_mov_b32 m0, ttmp2
.LBB8_1395:                             ; =>This Inner Loop Header: Depth=1
	s_sethalt 5
	s_branch .LBB8_1395
.LBB8_1396:
	s_trap 2
	s_sendmsg_rtn_b32 s0, sendmsg(MSG_RTN_GET_DOORBELL)
	s_mov_b32 ttmp2, m0
	s_waitcnt lgkmcnt(0)
	s_and_b32 s0, s0, 0x3ff
	s_delay_alu instid0(SALU_CYCLE_1) | instskip(NEXT) | instid1(SALU_CYCLE_1)
	s_bitset1_b32 s0, 10
	s_mov_b32 m0, s0
	s_sendmsg sendmsg(MSG_INTERRUPT)
	s_mov_b32 m0, ttmp2
.LBB8_1397:                             ; =>This Inner Loop Header: Depth=1
	s_sethalt 5
	s_branch .LBB8_1397
.LBB8_1398:
	s_trap 2
	s_sendmsg_rtn_b32 s0, sendmsg(MSG_RTN_GET_DOORBELL)
	s_mov_b32 ttmp2, m0
	s_waitcnt lgkmcnt(0)
	s_and_b32 s0, s0, 0x3ff
	s_delay_alu instid0(SALU_CYCLE_1) | instskip(NEXT) | instid1(SALU_CYCLE_1)
	s_bitset1_b32 s0, 10
	s_mov_b32 m0, s0
	s_sendmsg sendmsg(MSG_INTERRUPT)
	s_mov_b32 m0, ttmp2
.LBB8_1399:                             ; =>This Inner Loop Header: Depth=1
	s_sethalt 5
	s_branch .LBB8_1399
.LBB8_1400:
	s_trap 2
	s_sendmsg_rtn_b32 s0, sendmsg(MSG_RTN_GET_DOORBELL)
	s_mov_b32 ttmp2, m0
	s_waitcnt lgkmcnt(0)
	s_and_b32 s0, s0, 0x3ff
	s_delay_alu instid0(SALU_CYCLE_1) | instskip(NEXT) | instid1(SALU_CYCLE_1)
	s_bitset1_b32 s0, 10
	s_mov_b32 m0, s0
	s_sendmsg sendmsg(MSG_INTERRUPT)
	s_mov_b32 m0, ttmp2
.LBB8_1401:                             ; =>This Inner Loop Header: Depth=1
	s_sethalt 5
	s_branch .LBB8_1401
.LBB8_1402:
	s_trap 2
	s_sendmsg_rtn_b32 s0, sendmsg(MSG_RTN_GET_DOORBELL)
	s_mov_b32 ttmp2, m0
	s_waitcnt lgkmcnt(0)
	s_and_b32 s0, s0, 0x3ff
	s_delay_alu instid0(SALU_CYCLE_1) | instskip(NEXT) | instid1(SALU_CYCLE_1)
	s_bitset1_b32 s0, 10
	s_mov_b32 m0, s0
	s_sendmsg sendmsg(MSG_INTERRUPT)
	s_mov_b32 m0, ttmp2
.LBB8_1403:                             ; =>This Inner Loop Header: Depth=1
	s_sethalt 5
	s_branch .LBB8_1403
.LBB8_1404:
	s_trap 2
	s_sendmsg_rtn_b32 s0, sendmsg(MSG_RTN_GET_DOORBELL)
	s_mov_b32 ttmp2, m0
	s_waitcnt lgkmcnt(0)
	s_and_b32 s0, s0, 0x3ff
	s_delay_alu instid0(SALU_CYCLE_1) | instskip(NEXT) | instid1(SALU_CYCLE_1)
	s_bitset1_b32 s0, 10
	s_mov_b32 m0, s0
	s_sendmsg sendmsg(MSG_INTERRUPT)
	s_mov_b32 m0, ttmp2
.LBB8_1405:                             ; =>This Inner Loop Header: Depth=1
	s_sethalt 5
	s_branch .LBB8_1405
.LBB8_1406:
	s_trap 2
	s_sendmsg_rtn_b32 s0, sendmsg(MSG_RTN_GET_DOORBELL)
	s_mov_b32 ttmp2, m0
	s_waitcnt lgkmcnt(0)
	s_and_b32 s0, s0, 0x3ff
	s_delay_alu instid0(SALU_CYCLE_1) | instskip(NEXT) | instid1(SALU_CYCLE_1)
	s_bitset1_b32 s0, 10
	s_mov_b32 m0, s0
	s_sendmsg sendmsg(MSG_INTERRUPT)
	s_mov_b32 m0, ttmp2
.LBB8_1407:                             ; =>This Inner Loop Header: Depth=1
	s_sethalt 5
	s_branch .LBB8_1407
.LBB8_1408:
	s_trap 2
	s_sendmsg_rtn_b32 s0, sendmsg(MSG_RTN_GET_DOORBELL)
	s_mov_b32 ttmp2, m0
	s_waitcnt lgkmcnt(0)
	s_and_b32 s0, s0, 0x3ff
	s_delay_alu instid0(SALU_CYCLE_1) | instskip(NEXT) | instid1(SALU_CYCLE_1)
	s_bitset1_b32 s0, 10
	s_mov_b32 m0, s0
	s_sendmsg sendmsg(MSG_INTERRUPT)
	s_mov_b32 m0, ttmp2
.LBB8_1409:                             ; =>This Inner Loop Header: Depth=1
	s_sethalt 5
	s_branch .LBB8_1409
.LBB8_1410:
	s_trap 2
	s_sendmsg_rtn_b32 s0, sendmsg(MSG_RTN_GET_DOORBELL)
	s_mov_b32 ttmp2, m0
	s_waitcnt lgkmcnt(0)
	s_and_b32 s0, s0, 0x3ff
	s_delay_alu instid0(SALU_CYCLE_1) | instskip(NEXT) | instid1(SALU_CYCLE_1)
	s_bitset1_b32 s0, 10
	s_mov_b32 m0, s0
	s_sendmsg sendmsg(MSG_INTERRUPT)
	s_mov_b32 m0, ttmp2
.LBB8_1411:                             ; =>This Inner Loop Header: Depth=1
	s_sethalt 5
	s_branch .LBB8_1411
.LBB8_1412:
	s_trap 2
	s_sendmsg_rtn_b32 s0, sendmsg(MSG_RTN_GET_DOORBELL)
	s_mov_b32 ttmp2, m0
	s_waitcnt lgkmcnt(0)
	s_and_b32 s0, s0, 0x3ff
	s_delay_alu instid0(SALU_CYCLE_1) | instskip(NEXT) | instid1(SALU_CYCLE_1)
	s_bitset1_b32 s0, 10
	s_mov_b32 m0, s0
	s_sendmsg sendmsg(MSG_INTERRUPT)
	s_mov_b32 m0, ttmp2
.LBB8_1413:                             ; =>This Inner Loop Header: Depth=1
	s_sethalt 5
	s_branch .LBB8_1413
.LBB8_1414:
	s_trap 2
	s_sendmsg_rtn_b32 s0, sendmsg(MSG_RTN_GET_DOORBELL)
	s_mov_b32 ttmp2, m0
	s_waitcnt lgkmcnt(0)
	s_and_b32 s0, s0, 0x3ff
	s_delay_alu instid0(SALU_CYCLE_1) | instskip(NEXT) | instid1(SALU_CYCLE_1)
	s_bitset1_b32 s0, 10
	s_mov_b32 m0, s0
	s_sendmsg sendmsg(MSG_INTERRUPT)
	s_mov_b32 m0, ttmp2
.LBB8_1415:                             ; =>This Inner Loop Header: Depth=1
	s_sethalt 5
	s_branch .LBB8_1415
.LBB8_1416:
	s_trap 2
	s_sendmsg_rtn_b32 s0, sendmsg(MSG_RTN_GET_DOORBELL)
	s_mov_b32 ttmp2, m0
	s_waitcnt lgkmcnt(0)
	s_and_b32 s0, s0, 0x3ff
	s_delay_alu instid0(SALU_CYCLE_1) | instskip(NEXT) | instid1(SALU_CYCLE_1)
	s_bitset1_b32 s0, 10
	s_mov_b32 m0, s0
	s_sendmsg sendmsg(MSG_INTERRUPT)
	s_mov_b32 m0, ttmp2
.LBB8_1417:                             ; =>This Inner Loop Header: Depth=1
	s_sethalt 5
	s_branch .LBB8_1417
.LBB8_1418:
	s_trap 2
	s_sendmsg_rtn_b32 s0, sendmsg(MSG_RTN_GET_DOORBELL)
	s_mov_b32 ttmp2, m0
	s_waitcnt lgkmcnt(0)
	s_and_b32 s0, s0, 0x3ff
	s_delay_alu instid0(SALU_CYCLE_1) | instskip(NEXT) | instid1(SALU_CYCLE_1)
	s_bitset1_b32 s0, 10
	s_mov_b32 m0, s0
	s_sendmsg sendmsg(MSG_INTERRUPT)
	s_mov_b32 m0, ttmp2
.LBB8_1419:                             ; =>This Inner Loop Header: Depth=1
	s_sethalt 5
	s_branch .LBB8_1419
.LBB8_1420:
	s_trap 2
	s_sendmsg_rtn_b32 s0, sendmsg(MSG_RTN_GET_DOORBELL)
	s_mov_b32 ttmp2, m0
	s_waitcnt lgkmcnt(0)
	s_and_b32 s0, s0, 0x3ff
	s_delay_alu instid0(SALU_CYCLE_1) | instskip(NEXT) | instid1(SALU_CYCLE_1)
	s_bitset1_b32 s0, 10
	s_mov_b32 m0, s0
	s_sendmsg sendmsg(MSG_INTERRUPT)
	s_mov_b32 m0, ttmp2
.LBB8_1421:                             ; =>This Inner Loop Header: Depth=1
	s_sethalt 5
	s_branch .LBB8_1421
.LBB8_1422:
	s_trap 2
	s_sendmsg_rtn_b32 s0, sendmsg(MSG_RTN_GET_DOORBELL)
	s_mov_b32 ttmp2, m0
	s_waitcnt lgkmcnt(0)
	s_and_b32 s0, s0, 0x3ff
	s_delay_alu instid0(SALU_CYCLE_1) | instskip(NEXT) | instid1(SALU_CYCLE_1)
	s_bitset1_b32 s0, 10
	s_mov_b32 m0, s0
	s_sendmsg sendmsg(MSG_INTERRUPT)
	s_mov_b32 m0, ttmp2
.LBB8_1423:                             ; =>This Inner Loop Header: Depth=1
	s_sethalt 5
	s_branch .LBB8_1423
.LBB8_1424:
	s_trap 2
	s_sendmsg_rtn_b32 s0, sendmsg(MSG_RTN_GET_DOORBELL)
	s_mov_b32 ttmp2, m0
	s_waitcnt lgkmcnt(0)
	s_and_b32 s0, s0, 0x3ff
	s_delay_alu instid0(SALU_CYCLE_1) | instskip(NEXT) | instid1(SALU_CYCLE_1)
	s_bitset1_b32 s0, 10
	s_mov_b32 m0, s0
	s_sendmsg sendmsg(MSG_INTERRUPT)
	s_mov_b32 m0, ttmp2
.LBB8_1425:                             ; =>This Inner Loop Header: Depth=1
	s_sethalt 5
	s_branch .LBB8_1425
.LBB8_1426:
	s_or_b32 exec_lo, exec_lo, s4
	s_and_saveexec_b32 s4, s5
	s_delay_alu instid0(SALU_CYCLE_1)
	s_xor_b32 s4, exec_lo, s4
	s_cbranch_execz .LBB8_1428
; %bb.1427:
	v_mov_b32_e32 v0, 1
	ds_store_b32 v0, v0
	s_cbranch_execnz .LBB8_1525
.LBB8_1428:
	s_or_b32 exec_lo, exec_lo, s3
	;;#ASMSTART
	s_wakeup
	;;#ASMEND
.LBB8_1429:
	s_or_b32 exec_lo, exec_lo, s2
.LBB8_1430:
	s_and_not1_saveexec_b32 s1, s1
	s_cbranch_execz .LBB8_1432
; %bb.1431:
	s_waitcnt lgkmcnt(0)
	s_waitcnt_vscnt null, 0x0
	buffer_gl1_inv
	buffer_gl0_inv
	s_barrier
.LBB8_1432:
	s_or_b32 exec_lo, exec_lo, s0
.LBB8_1433:
	s_and_not1_saveexec_b32 s22, s20
	s_cbranch_execz .LBB8_1435
; %bb.1434:
	s_getpc_b64 s[0:1]
	s_add_u32 s0, s0, __PRETTY_FUNCTION__._ZN10PrimitivesIa7FuncSumIaE12FanSymmetricILi1EELi0E11ProtoSimpleILi1ELi1ELi0ELi2ELi0ELi0EELi0ELb0ELi0ELi0ELi0EEC2EiiPKiS8_PKvPvmhhhP15ncclDevWorkCollP14ncclDevWorkP2pii@rel32@lo+4
	s_addc_u32 s1, s1, __PRETTY_FUNCTION__._ZN10PrimitivesIa7FuncSumIaE12FanSymmetricILi1EELi0E11ProtoSimpleILi1ELi1ELi0ELi2ELi0ELi0EELi0ELb0ELi0ELi0ELi0EEC2EiiPKiS8_PKvPvmhhhP15ncclDevWorkCollP14ncclDevWorkP2pii@rel32@hi+12
	s_delay_alu instid0(SALU_CYCLE_1) | instskip(SKIP_3) | instid1(SALU_CYCLE_1)
	v_dual_mov_b32 v0, s0 :: v_dual_mov_b32 v1, s1
	s_getpc_b64 s[2:3]
	s_add_u32 s2, s2, __assert_fail@rel32@lo+4
	s_addc_u32 s3, s3, __assert_fail@rel32@hi+12
	s_swappc_b64 s[30:31], s[2:3]
	; divergent unreachable
.LBB8_1435:
	s_or_b32 exec_lo, exec_lo, s22
.LBB8_1436:
	s_delay_alu instid0(SALU_CYCLE_1)
	s_or_b32 exec_lo, exec_lo, s21
	scratch_load_b32 v40, off, s33          ; 4-byte Folded Reload
	v_readlane_b32 s30, v41, 7
	v_readlane_b32 s31, v41, 8
	;; [unrolled: 1-line block ×10, first 2 shown]
	s_or_saveexec_b32 s1, -1
	s_clause 0x1
	scratch_load_b32 v41, off, s33 offset:4
	scratch_load_b32 v42, off, s33 offset:8
	s_mov_b32 exec_lo, s1
	s_add_i32 s32, s32, -16
	s_mov_b32 s33, s0
	s_waitcnt vmcnt(0) lgkmcnt(0)
	s_setpc_b64 s[30:31]
.LBB8_1437:
	s_trap 2
	s_sendmsg_rtn_b32 s0, sendmsg(MSG_RTN_GET_DOORBELL)
	s_mov_b32 ttmp2, m0
	s_waitcnt lgkmcnt(0)
	s_and_b32 s0, s0, 0x3ff
	s_delay_alu instid0(SALU_CYCLE_1) | instskip(NEXT) | instid1(SALU_CYCLE_1)
	s_bitset1_b32 s0, 10
	s_mov_b32 m0, s0
	s_sendmsg sendmsg(MSG_INTERRUPT)
	s_mov_b32 m0, ttmp2
.LBB8_1438:                             ; =>This Inner Loop Header: Depth=1
	s_sethalt 5
	s_branch .LBB8_1438
.LBB8_1439:
	s_trap 2
	s_sendmsg_rtn_b32 s0, sendmsg(MSG_RTN_GET_DOORBELL)
	s_mov_b32 ttmp2, m0
	s_waitcnt lgkmcnt(0)
	s_and_b32 s0, s0, 0x3ff
	s_delay_alu instid0(SALU_CYCLE_1) | instskip(NEXT) | instid1(SALU_CYCLE_1)
	s_bitset1_b32 s0, 10
	s_mov_b32 m0, s0
	s_sendmsg sendmsg(MSG_INTERRUPT)
	s_mov_b32 m0, ttmp2
.LBB8_1440:                             ; =>This Inner Loop Header: Depth=1
	s_sethalt 5
	s_branch .LBB8_1440
.LBB8_1441:
	s_trap 2
	s_sendmsg_rtn_b32 s0, sendmsg(MSG_RTN_GET_DOORBELL)
	s_mov_b32 ttmp2, m0
	s_waitcnt lgkmcnt(0)
	s_and_b32 s0, s0, 0x3ff
	s_delay_alu instid0(SALU_CYCLE_1) | instskip(NEXT) | instid1(SALU_CYCLE_1)
	s_bitset1_b32 s0, 10
	s_mov_b32 m0, s0
	s_sendmsg sendmsg(MSG_INTERRUPT)
	s_mov_b32 m0, ttmp2
.LBB8_1442:                             ; =>This Inner Loop Header: Depth=1
	s_sethalt 5
	s_branch .LBB8_1442
.LBB8_1443:
	s_trap 2
	s_sendmsg_rtn_b32 s0, sendmsg(MSG_RTN_GET_DOORBELL)
	s_mov_b32 ttmp2, m0
	s_waitcnt lgkmcnt(0)
	s_and_b32 s0, s0, 0x3ff
	s_delay_alu instid0(SALU_CYCLE_1) | instskip(NEXT) | instid1(SALU_CYCLE_1)
	s_bitset1_b32 s0, 10
	s_mov_b32 m0, s0
	s_sendmsg sendmsg(MSG_INTERRUPT)
	s_mov_b32 m0, ttmp2
.LBB8_1444:                             ; =>This Inner Loop Header: Depth=1
	s_sethalt 5
	s_branch .LBB8_1444
.LBB8_1445:
	s_trap 2
	s_sendmsg_rtn_b32 s0, sendmsg(MSG_RTN_GET_DOORBELL)
	s_mov_b32 ttmp2, m0
	s_waitcnt lgkmcnt(0)
	s_and_b32 s0, s0, 0x3ff
	s_delay_alu instid0(SALU_CYCLE_1) | instskip(NEXT) | instid1(SALU_CYCLE_1)
	s_bitset1_b32 s0, 10
	s_mov_b32 m0, s0
	s_sendmsg sendmsg(MSG_INTERRUPT)
	s_mov_b32 m0, ttmp2
.LBB8_1446:                             ; =>This Inner Loop Header: Depth=1
	s_sethalt 5
	s_branch .LBB8_1446
.LBB8_1447:
	s_trap 2
	s_sendmsg_rtn_b32 s0, sendmsg(MSG_RTN_GET_DOORBELL)
	s_mov_b32 ttmp2, m0
	s_waitcnt lgkmcnt(0)
	s_and_b32 s0, s0, 0x3ff
	s_delay_alu instid0(SALU_CYCLE_1) | instskip(NEXT) | instid1(SALU_CYCLE_1)
	s_bitset1_b32 s0, 10
	s_mov_b32 m0, s0
	s_sendmsg sendmsg(MSG_INTERRUPT)
	s_mov_b32 m0, ttmp2
.LBB8_1448:                             ; =>This Inner Loop Header: Depth=1
	s_sethalt 5
	s_branch .LBB8_1448
.LBB8_1449:
	s_trap 2
	s_sendmsg_rtn_b32 s0, sendmsg(MSG_RTN_GET_DOORBELL)
	s_mov_b32 ttmp2, m0
	s_waitcnt lgkmcnt(0)
	s_and_b32 s0, s0, 0x3ff
	s_delay_alu instid0(SALU_CYCLE_1) | instskip(NEXT) | instid1(SALU_CYCLE_1)
	s_bitset1_b32 s0, 10
	s_mov_b32 m0, s0
	s_sendmsg sendmsg(MSG_INTERRUPT)
	s_mov_b32 m0, ttmp2
.LBB8_1450:                             ; =>This Inner Loop Header: Depth=1
	s_sethalt 5
	s_branch .LBB8_1450
.LBB8_1451:
	s_trap 2
	s_sendmsg_rtn_b32 s0, sendmsg(MSG_RTN_GET_DOORBELL)
	s_mov_b32 ttmp2, m0
	s_waitcnt lgkmcnt(0)
	s_and_b32 s0, s0, 0x3ff
	s_delay_alu instid0(SALU_CYCLE_1) | instskip(NEXT) | instid1(SALU_CYCLE_1)
	s_bitset1_b32 s0, 10
	s_mov_b32 m0, s0
	s_sendmsg sendmsg(MSG_INTERRUPT)
	s_mov_b32 m0, ttmp2
.LBB8_1452:                             ; =>This Inner Loop Header: Depth=1
	s_sethalt 5
	s_branch .LBB8_1452
.LBB8_1453:
	s_trap 2
	s_sendmsg_rtn_b32 s0, sendmsg(MSG_RTN_GET_DOORBELL)
	s_mov_b32 ttmp2, m0
	s_waitcnt lgkmcnt(0)
	s_and_b32 s0, s0, 0x3ff
	s_delay_alu instid0(SALU_CYCLE_1) | instskip(NEXT) | instid1(SALU_CYCLE_1)
	s_bitset1_b32 s0, 10
	s_mov_b32 m0, s0
	s_sendmsg sendmsg(MSG_INTERRUPT)
	s_mov_b32 m0, ttmp2
.LBB8_1454:                             ; =>This Inner Loop Header: Depth=1
	s_sethalt 5
	s_branch .LBB8_1454
.LBB8_1455:
	s_trap 2
	s_sendmsg_rtn_b32 s0, sendmsg(MSG_RTN_GET_DOORBELL)
	s_mov_b32 ttmp2, m0
	s_waitcnt lgkmcnt(0)
	s_and_b32 s0, s0, 0x3ff
	s_delay_alu instid0(SALU_CYCLE_1) | instskip(NEXT) | instid1(SALU_CYCLE_1)
	s_bitset1_b32 s0, 10
	s_mov_b32 m0, s0
	s_sendmsg sendmsg(MSG_INTERRUPT)
	s_mov_b32 m0, ttmp2
.LBB8_1456:                             ; =>This Inner Loop Header: Depth=1
	s_sethalt 5
	s_branch .LBB8_1456
.LBB8_1457:
	s_trap 2
	s_sendmsg_rtn_b32 s0, sendmsg(MSG_RTN_GET_DOORBELL)
	s_mov_b32 ttmp2, m0
	s_waitcnt lgkmcnt(0)
	s_and_b32 s0, s0, 0x3ff
	s_delay_alu instid0(SALU_CYCLE_1) | instskip(NEXT) | instid1(SALU_CYCLE_1)
	s_bitset1_b32 s0, 10
	s_mov_b32 m0, s0
	s_sendmsg sendmsg(MSG_INTERRUPT)
	s_mov_b32 m0, ttmp2
.LBB8_1458:                             ; =>This Inner Loop Header: Depth=1
	s_sethalt 5
	s_branch .LBB8_1458
.LBB8_1459:
	s_trap 2
	s_sendmsg_rtn_b32 s0, sendmsg(MSG_RTN_GET_DOORBELL)
	s_mov_b32 ttmp2, m0
	s_waitcnt lgkmcnt(0)
	s_and_b32 s0, s0, 0x3ff
	s_delay_alu instid0(SALU_CYCLE_1) | instskip(NEXT) | instid1(SALU_CYCLE_1)
	s_bitset1_b32 s0, 10
	s_mov_b32 m0, s0
	s_sendmsg sendmsg(MSG_INTERRUPT)
	s_mov_b32 m0, ttmp2
.LBB8_1460:                             ; =>This Inner Loop Header: Depth=1
	s_sethalt 5
	s_branch .LBB8_1460
.LBB8_1461:
	s_trap 2
	s_sendmsg_rtn_b32 s0, sendmsg(MSG_RTN_GET_DOORBELL)
	s_mov_b32 ttmp2, m0
	s_waitcnt lgkmcnt(0)
	s_and_b32 s0, s0, 0x3ff
	s_delay_alu instid0(SALU_CYCLE_1) | instskip(NEXT) | instid1(SALU_CYCLE_1)
	s_bitset1_b32 s0, 10
	s_mov_b32 m0, s0
	s_sendmsg sendmsg(MSG_INTERRUPT)
	s_mov_b32 m0, ttmp2
.LBB8_1462:                             ; =>This Inner Loop Header: Depth=1
	s_sethalt 5
	s_branch .LBB8_1462
.LBB8_1463:
	s_trap 2
	s_sendmsg_rtn_b32 s0, sendmsg(MSG_RTN_GET_DOORBELL)
	s_mov_b32 ttmp2, m0
	s_waitcnt lgkmcnt(0)
	s_and_b32 s0, s0, 0x3ff
	s_delay_alu instid0(SALU_CYCLE_1) | instskip(NEXT) | instid1(SALU_CYCLE_1)
	s_bitset1_b32 s0, 10
	s_mov_b32 m0, s0
	s_sendmsg sendmsg(MSG_INTERRUPT)
	s_mov_b32 m0, ttmp2
.LBB8_1464:                             ; =>This Inner Loop Header: Depth=1
	s_sethalt 5
	s_branch .LBB8_1464
.LBB8_1465:
	s_trap 2
	s_sendmsg_rtn_b32 s0, sendmsg(MSG_RTN_GET_DOORBELL)
	s_mov_b32 ttmp2, m0
	s_waitcnt lgkmcnt(0)
	s_and_b32 s0, s0, 0x3ff
	s_delay_alu instid0(SALU_CYCLE_1) | instskip(NEXT) | instid1(SALU_CYCLE_1)
	s_bitset1_b32 s0, 10
	s_mov_b32 m0, s0
	s_sendmsg sendmsg(MSG_INTERRUPT)
	s_mov_b32 m0, ttmp2
.LBB8_1466:                             ; =>This Inner Loop Header: Depth=1
	s_sethalt 5
	s_branch .LBB8_1466
.LBB8_1467:
	s_trap 2
	s_sendmsg_rtn_b32 s0, sendmsg(MSG_RTN_GET_DOORBELL)
	s_mov_b32 ttmp2, m0
	s_waitcnt lgkmcnt(0)
	s_and_b32 s0, s0, 0x3ff
	s_delay_alu instid0(SALU_CYCLE_1) | instskip(NEXT) | instid1(SALU_CYCLE_1)
	s_bitset1_b32 s0, 10
	s_mov_b32 m0, s0
	s_sendmsg sendmsg(MSG_INTERRUPT)
	s_mov_b32 m0, ttmp2
.LBB8_1468:                             ; =>This Inner Loop Header: Depth=1
	s_sethalt 5
	s_branch .LBB8_1468
.LBB8_1469:
	s_trap 2
	s_sendmsg_rtn_b32 s0, sendmsg(MSG_RTN_GET_DOORBELL)
	s_mov_b32 ttmp2, m0
	s_waitcnt lgkmcnt(0)
	s_and_b32 s0, s0, 0x3ff
	s_delay_alu instid0(SALU_CYCLE_1) | instskip(NEXT) | instid1(SALU_CYCLE_1)
	s_bitset1_b32 s0, 10
	s_mov_b32 m0, s0
	s_sendmsg sendmsg(MSG_INTERRUPT)
	s_mov_b32 m0, ttmp2
.LBB8_1470:                             ; =>This Inner Loop Header: Depth=1
	s_sethalt 5
	s_branch .LBB8_1470
.LBB8_1471:
	s_trap 2
	s_sendmsg_rtn_b32 s0, sendmsg(MSG_RTN_GET_DOORBELL)
	s_mov_b32 ttmp2, m0
	s_waitcnt lgkmcnt(0)
	s_and_b32 s0, s0, 0x3ff
	s_delay_alu instid0(SALU_CYCLE_1) | instskip(NEXT) | instid1(SALU_CYCLE_1)
	s_bitset1_b32 s0, 10
	s_mov_b32 m0, s0
	s_sendmsg sendmsg(MSG_INTERRUPT)
	s_mov_b32 m0, ttmp2
.LBB8_1472:                             ; =>This Inner Loop Header: Depth=1
	s_sethalt 5
	s_branch .LBB8_1472
.LBB8_1473:
	s_trap 2
	s_sendmsg_rtn_b32 s0, sendmsg(MSG_RTN_GET_DOORBELL)
	s_mov_b32 ttmp2, m0
	s_waitcnt lgkmcnt(0)
	s_and_b32 s0, s0, 0x3ff
	s_delay_alu instid0(SALU_CYCLE_1) | instskip(NEXT) | instid1(SALU_CYCLE_1)
	s_bitset1_b32 s0, 10
	s_mov_b32 m0, s0
	s_sendmsg sendmsg(MSG_INTERRUPT)
	s_mov_b32 m0, ttmp2
.LBB8_1474:                             ; =>This Inner Loop Header: Depth=1
	s_sethalt 5
	s_branch .LBB8_1474
.LBB8_1475:
	s_trap 2
	s_sendmsg_rtn_b32 s0, sendmsg(MSG_RTN_GET_DOORBELL)
	s_mov_b32 ttmp2, m0
	s_waitcnt lgkmcnt(0)
	s_and_b32 s0, s0, 0x3ff
	s_delay_alu instid0(SALU_CYCLE_1) | instskip(NEXT) | instid1(SALU_CYCLE_1)
	s_bitset1_b32 s0, 10
	s_mov_b32 m0, s0
	s_sendmsg sendmsg(MSG_INTERRUPT)
	s_mov_b32 m0, ttmp2
.LBB8_1476:                             ; =>This Inner Loop Header: Depth=1
	s_sethalt 5
	s_branch .LBB8_1476
.LBB8_1477:
	s_trap 2
	s_sendmsg_rtn_b32 s0, sendmsg(MSG_RTN_GET_DOORBELL)
	s_mov_b32 ttmp2, m0
	s_waitcnt lgkmcnt(0)
	s_and_b32 s0, s0, 0x3ff
	s_delay_alu instid0(SALU_CYCLE_1) | instskip(NEXT) | instid1(SALU_CYCLE_1)
	s_bitset1_b32 s0, 10
	s_mov_b32 m0, s0
	s_sendmsg sendmsg(MSG_INTERRUPT)
	s_mov_b32 m0, ttmp2
.LBB8_1478:                             ; =>This Inner Loop Header: Depth=1
	s_sethalt 5
	s_branch .LBB8_1478
.LBB8_1479:
	s_trap 2
	s_sendmsg_rtn_b32 s0, sendmsg(MSG_RTN_GET_DOORBELL)
	s_mov_b32 ttmp2, m0
	s_waitcnt lgkmcnt(0)
	s_and_b32 s0, s0, 0x3ff
	s_delay_alu instid0(SALU_CYCLE_1) | instskip(NEXT) | instid1(SALU_CYCLE_1)
	s_bitset1_b32 s0, 10
	s_mov_b32 m0, s0
	s_sendmsg sendmsg(MSG_INTERRUPT)
	s_mov_b32 m0, ttmp2
.LBB8_1480:                             ; =>This Inner Loop Header: Depth=1
	s_sethalt 5
	s_branch .LBB8_1480
.LBB8_1481:
	s_trap 2
	s_sendmsg_rtn_b32 s0, sendmsg(MSG_RTN_GET_DOORBELL)
	s_mov_b32 ttmp2, m0
	s_waitcnt lgkmcnt(0)
	s_and_b32 s0, s0, 0x3ff
	s_delay_alu instid0(SALU_CYCLE_1) | instskip(NEXT) | instid1(SALU_CYCLE_1)
	s_bitset1_b32 s0, 10
	s_mov_b32 m0, s0
	s_sendmsg sendmsg(MSG_INTERRUPT)
	s_mov_b32 m0, ttmp2
.LBB8_1482:                             ; =>This Inner Loop Header: Depth=1
	s_sethalt 5
	s_branch .LBB8_1482
.LBB8_1483:
	s_trap 2
	s_sendmsg_rtn_b32 s0, sendmsg(MSG_RTN_GET_DOORBELL)
	s_mov_b32 ttmp2, m0
	s_waitcnt lgkmcnt(0)
	s_and_b32 s0, s0, 0x3ff
	s_delay_alu instid0(SALU_CYCLE_1) | instskip(NEXT) | instid1(SALU_CYCLE_1)
	s_bitset1_b32 s0, 10
	s_mov_b32 m0, s0
	s_sendmsg sendmsg(MSG_INTERRUPT)
	s_mov_b32 m0, ttmp2
.LBB8_1484:                             ; =>This Inner Loop Header: Depth=1
	s_sethalt 5
	s_branch .LBB8_1484
.LBB8_1485:
	s_trap 2
	s_sendmsg_rtn_b32 s0, sendmsg(MSG_RTN_GET_DOORBELL)
	s_mov_b32 ttmp2, m0
	s_waitcnt lgkmcnt(0)
	s_and_b32 s0, s0, 0x3ff
	s_delay_alu instid0(SALU_CYCLE_1) | instskip(NEXT) | instid1(SALU_CYCLE_1)
	s_bitset1_b32 s0, 10
	s_mov_b32 m0, s0
	s_sendmsg sendmsg(MSG_INTERRUPT)
	s_mov_b32 m0, ttmp2
.LBB8_1486:                             ; =>This Inner Loop Header: Depth=1
	s_sethalt 5
	s_branch .LBB8_1486
.LBB8_1487:
	s_trap 2
	s_sendmsg_rtn_b32 s0, sendmsg(MSG_RTN_GET_DOORBELL)
	s_mov_b32 ttmp2, m0
	s_waitcnt lgkmcnt(0)
	s_and_b32 s0, s0, 0x3ff
	s_delay_alu instid0(SALU_CYCLE_1) | instskip(NEXT) | instid1(SALU_CYCLE_1)
	s_bitset1_b32 s0, 10
	s_mov_b32 m0, s0
	s_sendmsg sendmsg(MSG_INTERRUPT)
	s_mov_b32 m0, ttmp2
.LBB8_1488:                             ; =>This Inner Loop Header: Depth=1
	s_sethalt 5
	s_branch .LBB8_1488
.LBB8_1489:
	s_trap 2
	s_sendmsg_rtn_b32 s0, sendmsg(MSG_RTN_GET_DOORBELL)
	s_mov_b32 ttmp2, m0
	s_waitcnt lgkmcnt(0)
	s_and_b32 s0, s0, 0x3ff
	s_delay_alu instid0(SALU_CYCLE_1) | instskip(NEXT) | instid1(SALU_CYCLE_1)
	s_bitset1_b32 s0, 10
	s_mov_b32 m0, s0
	s_sendmsg sendmsg(MSG_INTERRUPT)
	s_mov_b32 m0, ttmp2
.LBB8_1490:                             ; =>This Inner Loop Header: Depth=1
	s_sethalt 5
	s_branch .LBB8_1490
.LBB8_1491:
	s_trap 2
	s_sendmsg_rtn_b32 s0, sendmsg(MSG_RTN_GET_DOORBELL)
	s_mov_b32 ttmp2, m0
	s_waitcnt lgkmcnt(0)
	s_and_b32 s0, s0, 0x3ff
	s_delay_alu instid0(SALU_CYCLE_1) | instskip(NEXT) | instid1(SALU_CYCLE_1)
	s_bitset1_b32 s0, 10
	s_mov_b32 m0, s0
	s_sendmsg sendmsg(MSG_INTERRUPT)
	s_mov_b32 m0, ttmp2
.LBB8_1492:                             ; =>This Inner Loop Header: Depth=1
	s_sethalt 5
	s_branch .LBB8_1492
.LBB8_1493:
	s_trap 2
	s_sendmsg_rtn_b32 s0, sendmsg(MSG_RTN_GET_DOORBELL)
	s_mov_b32 ttmp2, m0
	s_waitcnt lgkmcnt(0)
	s_and_b32 s0, s0, 0x3ff
	s_delay_alu instid0(SALU_CYCLE_1) | instskip(NEXT) | instid1(SALU_CYCLE_1)
	s_bitset1_b32 s0, 10
	s_mov_b32 m0, s0
	s_sendmsg sendmsg(MSG_INTERRUPT)
	s_mov_b32 m0, ttmp2
.LBB8_1494:                             ; =>This Inner Loop Header: Depth=1
	s_sethalt 5
	s_branch .LBB8_1494
.LBB8_1495:
	s_trap 2
	s_sendmsg_rtn_b32 s0, sendmsg(MSG_RTN_GET_DOORBELL)
	s_mov_b32 ttmp2, m0
	s_waitcnt lgkmcnt(0)
	s_and_b32 s0, s0, 0x3ff
	s_delay_alu instid0(SALU_CYCLE_1) | instskip(NEXT) | instid1(SALU_CYCLE_1)
	s_bitset1_b32 s0, 10
	s_mov_b32 m0, s0
	s_sendmsg sendmsg(MSG_INTERRUPT)
	s_mov_b32 m0, ttmp2
.LBB8_1496:                             ; =>This Inner Loop Header: Depth=1
	s_sethalt 5
	s_branch .LBB8_1496
.LBB8_1497:
	s_trap 2
	s_sendmsg_rtn_b32 s0, sendmsg(MSG_RTN_GET_DOORBELL)
	s_mov_b32 ttmp2, m0
	s_waitcnt lgkmcnt(0)
	s_and_b32 s0, s0, 0x3ff
	s_delay_alu instid0(SALU_CYCLE_1) | instskip(NEXT) | instid1(SALU_CYCLE_1)
	s_bitset1_b32 s0, 10
	s_mov_b32 m0, s0
	s_sendmsg sendmsg(MSG_INTERRUPT)
	s_mov_b32 m0, ttmp2
.LBB8_1498:                             ; =>This Inner Loop Header: Depth=1
	s_sethalt 5
	s_branch .LBB8_1498
.LBB8_1499:
	s_trap 2
	s_sendmsg_rtn_b32 s0, sendmsg(MSG_RTN_GET_DOORBELL)
	s_mov_b32 ttmp2, m0
	s_waitcnt lgkmcnt(0)
	s_and_b32 s0, s0, 0x3ff
	s_delay_alu instid0(SALU_CYCLE_1) | instskip(NEXT) | instid1(SALU_CYCLE_1)
	s_bitset1_b32 s0, 10
	s_mov_b32 m0, s0
	s_sendmsg sendmsg(MSG_INTERRUPT)
	s_mov_b32 m0, ttmp2
.LBB8_1500:                             ; =>This Inner Loop Header: Depth=1
	s_sethalt 5
	s_branch .LBB8_1500
.LBB8_1501:
	s_trap 2
	s_sendmsg_rtn_b32 s0, sendmsg(MSG_RTN_GET_DOORBELL)
	s_mov_b32 ttmp2, m0
	s_waitcnt lgkmcnt(0)
	s_and_b32 s0, s0, 0x3ff
	s_delay_alu instid0(SALU_CYCLE_1) | instskip(NEXT) | instid1(SALU_CYCLE_1)
	s_bitset1_b32 s0, 10
	s_mov_b32 m0, s0
	s_sendmsg sendmsg(MSG_INTERRUPT)
	s_mov_b32 m0, ttmp2
.LBB8_1502:                             ; =>This Inner Loop Header: Depth=1
	s_sethalt 5
	s_branch .LBB8_1502
.LBB8_1503:
	s_trap 2
	s_sendmsg_rtn_b32 s0, sendmsg(MSG_RTN_GET_DOORBELL)
	s_mov_b32 ttmp2, m0
	s_waitcnt lgkmcnt(0)
	s_and_b32 s0, s0, 0x3ff
	s_delay_alu instid0(SALU_CYCLE_1) | instskip(NEXT) | instid1(SALU_CYCLE_1)
	s_bitset1_b32 s0, 10
	s_mov_b32 m0, s0
	s_sendmsg sendmsg(MSG_INTERRUPT)
	s_mov_b32 m0, ttmp2
.LBB8_1504:                             ; =>This Inner Loop Header: Depth=1
	s_sethalt 5
	s_branch .LBB8_1504
.LBB8_1505:
	s_trap 2
	s_sendmsg_rtn_b32 s0, sendmsg(MSG_RTN_GET_DOORBELL)
	s_mov_b32 ttmp2, m0
	s_waitcnt lgkmcnt(0)
	s_and_b32 s0, s0, 0x3ff
	s_delay_alu instid0(SALU_CYCLE_1) | instskip(NEXT) | instid1(SALU_CYCLE_1)
	s_bitset1_b32 s0, 10
	s_mov_b32 m0, s0
	s_sendmsg sendmsg(MSG_INTERRUPT)
	s_mov_b32 m0, ttmp2
.LBB8_1506:                             ; =>This Inner Loop Header: Depth=1
	s_sethalt 5
	s_branch .LBB8_1506
.LBB8_1507:
	s_trap 2
	s_sendmsg_rtn_b32 s0, sendmsg(MSG_RTN_GET_DOORBELL)
	s_mov_b32 ttmp2, m0
	s_waitcnt lgkmcnt(0)
	s_and_b32 s0, s0, 0x3ff
	s_delay_alu instid0(SALU_CYCLE_1) | instskip(NEXT) | instid1(SALU_CYCLE_1)
	s_bitset1_b32 s0, 10
	s_mov_b32 m0, s0
	s_sendmsg sendmsg(MSG_INTERRUPT)
	s_mov_b32 m0, ttmp2
.LBB8_1508:                             ; =>This Inner Loop Header: Depth=1
	s_sethalt 5
	s_branch .LBB8_1508
.LBB8_1509:
	s_trap 2
	s_sendmsg_rtn_b32 s0, sendmsg(MSG_RTN_GET_DOORBELL)
	s_mov_b32 ttmp2, m0
	s_waitcnt lgkmcnt(0)
	s_and_b32 s0, s0, 0x3ff
	s_delay_alu instid0(SALU_CYCLE_1) | instskip(NEXT) | instid1(SALU_CYCLE_1)
	s_bitset1_b32 s0, 10
	s_mov_b32 m0, s0
	s_sendmsg sendmsg(MSG_INTERRUPT)
	s_mov_b32 m0, ttmp2
.LBB8_1510:                             ; =>This Inner Loop Header: Depth=1
	s_sethalt 5
	s_branch .LBB8_1510
.LBB8_1511:
	s_trap 2
	s_sendmsg_rtn_b32 s0, sendmsg(MSG_RTN_GET_DOORBELL)
	s_mov_b32 ttmp2, m0
	s_waitcnt lgkmcnt(0)
	s_and_b32 s0, s0, 0x3ff
	s_delay_alu instid0(SALU_CYCLE_1) | instskip(NEXT) | instid1(SALU_CYCLE_1)
	s_bitset1_b32 s0, 10
	s_mov_b32 m0, s0
	s_sendmsg sendmsg(MSG_INTERRUPT)
	s_mov_b32 m0, ttmp2
.LBB8_1512:                             ; =>This Inner Loop Header: Depth=1
	s_sethalt 5
	s_branch .LBB8_1512
.LBB8_1513:
	s_trap 2
	s_sendmsg_rtn_b32 s0, sendmsg(MSG_RTN_GET_DOORBELL)
	s_mov_b32 ttmp2, m0
	s_waitcnt lgkmcnt(0)
	s_and_b32 s0, s0, 0x3ff
	s_delay_alu instid0(SALU_CYCLE_1) | instskip(NEXT) | instid1(SALU_CYCLE_1)
	s_bitset1_b32 s0, 10
	s_mov_b32 m0, s0
	s_sendmsg sendmsg(MSG_INTERRUPT)
	s_mov_b32 m0, ttmp2
.LBB8_1514:                             ; =>This Inner Loop Header: Depth=1
	s_sethalt 5
	s_branch .LBB8_1514
.LBB8_1515:
	s_trap 2
	s_sendmsg_rtn_b32 s0, sendmsg(MSG_RTN_GET_DOORBELL)
	s_mov_b32 ttmp2, m0
	s_waitcnt lgkmcnt(0)
	s_and_b32 s0, s0, 0x3ff
	s_delay_alu instid0(SALU_CYCLE_1) | instskip(NEXT) | instid1(SALU_CYCLE_1)
	s_bitset1_b32 s0, 10
	s_mov_b32 m0, s0
	s_sendmsg sendmsg(MSG_INTERRUPT)
	s_mov_b32 m0, ttmp2
.LBB8_1516:                             ; =>This Inner Loop Header: Depth=1
	s_sethalt 5
	s_branch .LBB8_1516
.LBB8_1517:
	s_trap 2
	s_sendmsg_rtn_b32 s0, sendmsg(MSG_RTN_GET_DOORBELL)
	s_mov_b32 ttmp2, m0
	s_waitcnt lgkmcnt(0)
	s_and_b32 s0, s0, 0x3ff
	s_delay_alu instid0(SALU_CYCLE_1) | instskip(NEXT) | instid1(SALU_CYCLE_1)
	s_bitset1_b32 s0, 10
	s_mov_b32 m0, s0
	s_sendmsg sendmsg(MSG_INTERRUPT)
	s_mov_b32 m0, ttmp2
.LBB8_1518:                             ; =>This Inner Loop Header: Depth=1
	s_sethalt 5
	s_branch .LBB8_1518
.LBB8_1519:
	s_trap 2
	s_sendmsg_rtn_b32 s0, sendmsg(MSG_RTN_GET_DOORBELL)
	s_mov_b32 ttmp2, m0
	s_waitcnt lgkmcnt(0)
	s_and_b32 s0, s0, 0x3ff
	s_delay_alu instid0(SALU_CYCLE_1) | instskip(NEXT) | instid1(SALU_CYCLE_1)
	s_bitset1_b32 s0, 10
	s_mov_b32 m0, s0
	s_sendmsg sendmsg(MSG_INTERRUPT)
	s_mov_b32 m0, ttmp2
.LBB8_1520:                             ; =>This Inner Loop Header: Depth=1
	s_sethalt 5
	s_branch .LBB8_1520
.LBB8_1521:
	s_trap 2
	s_sendmsg_rtn_b32 s0, sendmsg(MSG_RTN_GET_DOORBELL)
	s_mov_b32 ttmp2, m0
	s_waitcnt lgkmcnt(0)
	s_and_b32 s0, s0, 0x3ff
	s_delay_alu instid0(SALU_CYCLE_1) | instskip(NEXT) | instid1(SALU_CYCLE_1)
	s_bitset1_b32 s0, 10
	s_mov_b32 m0, s0
	s_sendmsg sendmsg(MSG_INTERRUPT)
	s_mov_b32 m0, ttmp2
.LBB8_1522:                             ; =>This Inner Loop Header: Depth=1
	s_sethalt 5
	s_branch .LBB8_1522
.LBB8_1523:
	s_trap 2
	s_sendmsg_rtn_b32 s0, sendmsg(MSG_RTN_GET_DOORBELL)
	s_mov_b32 ttmp2, m0
	s_waitcnt lgkmcnt(0)
	s_and_b32 s0, s0, 0x3ff
	s_delay_alu instid0(SALU_CYCLE_1) | instskip(NEXT) | instid1(SALU_CYCLE_1)
	s_bitset1_b32 s0, 10
	s_mov_b32 m0, s0
	s_sendmsg sendmsg(MSG_INTERRUPT)
	s_mov_b32 m0, ttmp2
.LBB8_1524:                             ; =>This Inner Loop Header: Depth=1
	s_sethalt 5
	s_branch .LBB8_1524
.LBB8_1525:
	s_trap 2
	s_sendmsg_rtn_b32 s0, sendmsg(MSG_RTN_GET_DOORBELL)
	s_mov_b32 ttmp2, m0
	s_waitcnt lgkmcnt(0)
	s_and_b32 s0, s0, 0x3ff
	s_delay_alu instid0(SALU_CYCLE_1) | instskip(NEXT) | instid1(SALU_CYCLE_1)
	s_bitset1_b32 s0, 10
	s_mov_b32 m0, s0
	s_sendmsg sendmsg(MSG_INTERRUPT)
	s_mov_b32 m0, ttmp2
.LBB8_1526:                             ; =>This Inner Loop Header: Depth=1
	s_sethalt 5
	s_branch .LBB8_1526
.LBB8_1527:
	s_trap 2
	s_sendmsg_rtn_b32 s0, sendmsg(MSG_RTN_GET_DOORBELL)
	s_mov_b32 ttmp2, m0
	s_waitcnt lgkmcnt(0)
	s_and_b32 s0, s0, 0x3ff
	s_delay_alu instid0(SALU_CYCLE_1) | instskip(NEXT) | instid1(SALU_CYCLE_1)
	s_bitset1_b32 s0, 10
	s_mov_b32 m0, s0
	s_sendmsg sendmsg(MSG_INTERRUPT)
	s_mov_b32 m0, ttmp2
.LBB8_1528:                             ; =>This Inner Loop Header: Depth=1
	s_sethalt 5
	s_branch .LBB8_1528
.LBB8_1529:
	s_trap 2
	s_sendmsg_rtn_b32 s0, sendmsg(MSG_RTN_GET_DOORBELL)
	s_mov_b32 ttmp2, m0
	s_waitcnt lgkmcnt(0)
	s_and_b32 s0, s0, 0x3ff
	s_delay_alu instid0(SALU_CYCLE_1) | instskip(NEXT) | instid1(SALU_CYCLE_1)
	s_bitset1_b32 s0, 10
	s_mov_b32 m0, s0
	s_sendmsg sendmsg(MSG_INTERRUPT)
	s_mov_b32 m0, ttmp2
.LBB8_1530:                             ; =>This Inner Loop Header: Depth=1
	s_sethalt 5
	s_branch .LBB8_1530
.LBB8_1531:
	s_trap 2
	s_sendmsg_rtn_b32 s0, sendmsg(MSG_RTN_GET_DOORBELL)
	s_mov_b32 ttmp2, m0
	s_waitcnt lgkmcnt(0)
	s_and_b32 s0, s0, 0x3ff
	s_delay_alu instid0(SALU_CYCLE_1) | instskip(NEXT) | instid1(SALU_CYCLE_1)
	s_bitset1_b32 s0, 10
	s_mov_b32 m0, s0
	s_sendmsg sendmsg(MSG_INTERRUPT)
	s_mov_b32 m0, ttmp2
.LBB8_1532:                             ; =>This Inner Loop Header: Depth=1
	s_sethalt 5
	s_branch .LBB8_1532
.LBB8_1533:
	s_trap 2
	s_sendmsg_rtn_b32 s0, sendmsg(MSG_RTN_GET_DOORBELL)
	s_mov_b32 ttmp2, m0
	s_waitcnt lgkmcnt(0)
	s_and_b32 s0, s0, 0x3ff
	s_delay_alu instid0(SALU_CYCLE_1) | instskip(NEXT) | instid1(SALU_CYCLE_1)
	s_bitset1_b32 s0, 10
	s_mov_b32 m0, s0
	s_sendmsg sendmsg(MSG_INTERRUPT)
	s_mov_b32 m0, ttmp2
.LBB8_1534:                             ; =>This Inner Loop Header: Depth=1
	s_sethalt 5
	s_branch .LBB8_1534
.LBB8_1535:
	s_trap 2
	s_sendmsg_rtn_b32 s0, sendmsg(MSG_RTN_GET_DOORBELL)
	s_mov_b32 ttmp2, m0
	s_waitcnt lgkmcnt(0)
	s_and_b32 s0, s0, 0x3ff
	s_delay_alu instid0(SALU_CYCLE_1) | instskip(NEXT) | instid1(SALU_CYCLE_1)
	s_bitset1_b32 s0, 10
	s_mov_b32 m0, s0
	s_sendmsg sendmsg(MSG_INTERRUPT)
	s_mov_b32 m0, ttmp2
.LBB8_1536:                             ; =>This Inner Loop Header: Depth=1
	s_sethalt 5
	s_branch .LBB8_1536
.LBB8_1537:
	s_trap 2
	s_sendmsg_rtn_b32 s0, sendmsg(MSG_RTN_GET_DOORBELL)
	s_mov_b32 ttmp2, m0
	s_waitcnt lgkmcnt(0)
	s_and_b32 s0, s0, 0x3ff
	s_delay_alu instid0(SALU_CYCLE_1) | instskip(NEXT) | instid1(SALU_CYCLE_1)
	s_bitset1_b32 s0, 10
	s_mov_b32 m0, s0
	s_sendmsg sendmsg(MSG_INTERRUPT)
	s_mov_b32 m0, ttmp2
.LBB8_1538:                             ; =>This Inner Loop Header: Depth=1
	s_sethalt 5
	s_branch .LBB8_1538
.LBB8_1539:
	s_trap 2
	s_sendmsg_rtn_b32 s0, sendmsg(MSG_RTN_GET_DOORBELL)
	s_mov_b32 ttmp2, m0
	s_waitcnt lgkmcnt(0)
	s_and_b32 s0, s0, 0x3ff
	s_delay_alu instid0(SALU_CYCLE_1) | instskip(NEXT) | instid1(SALU_CYCLE_1)
	s_bitset1_b32 s0, 10
	s_mov_b32 m0, s0
	s_sendmsg sendmsg(MSG_INTERRUPT)
	s_mov_b32 m0, ttmp2
.LBB8_1540:                             ; =>This Inner Loop Header: Depth=1
	s_sethalt 5
	s_branch .LBB8_1540
.LBB8_1541:
	s_trap 2
	s_sendmsg_rtn_b32 s0, sendmsg(MSG_RTN_GET_DOORBELL)
	s_mov_b32 ttmp2, m0
	s_waitcnt lgkmcnt(0)
	s_and_b32 s0, s0, 0x3ff
	s_delay_alu instid0(SALU_CYCLE_1) | instskip(NEXT) | instid1(SALU_CYCLE_1)
	s_bitset1_b32 s0, 10
	s_mov_b32 m0, s0
	s_sendmsg sendmsg(MSG_INTERRUPT)
	s_mov_b32 m0, ttmp2
.LBB8_1542:                             ; =>This Inner Loop Header: Depth=1
	s_sethalt 5
	s_branch .LBB8_1542
.LBB8_1543:
	s_trap 2
	s_sendmsg_rtn_b32 s0, sendmsg(MSG_RTN_GET_DOORBELL)
	s_mov_b32 ttmp2, m0
	s_waitcnt lgkmcnt(0)
	s_and_b32 s0, s0, 0x3ff
	s_delay_alu instid0(SALU_CYCLE_1) | instskip(NEXT) | instid1(SALU_CYCLE_1)
	s_bitset1_b32 s0, 10
	s_mov_b32 m0, s0
	s_sendmsg sendmsg(MSG_INTERRUPT)
	s_mov_b32 m0, ttmp2
.LBB8_1544:                             ; =>This Inner Loop Header: Depth=1
	s_sethalt 5
	s_branch .LBB8_1544
.LBB8_1545:
	s_trap 2
	s_sendmsg_rtn_b32 s0, sendmsg(MSG_RTN_GET_DOORBELL)
	s_mov_b32 ttmp2, m0
	s_waitcnt lgkmcnt(0)
	s_and_b32 s0, s0, 0x3ff
	s_delay_alu instid0(SALU_CYCLE_1) | instskip(NEXT) | instid1(SALU_CYCLE_1)
	s_bitset1_b32 s0, 10
	s_mov_b32 m0, s0
	s_sendmsg sendmsg(MSG_INTERRUPT)
	s_mov_b32 m0, ttmp2
.LBB8_1546:                             ; =>This Inner Loop Header: Depth=1
	s_sethalt 5
	s_branch .LBB8_1546
.LBB8_1547:
	s_trap 2
	s_sendmsg_rtn_b32 s0, sendmsg(MSG_RTN_GET_DOORBELL)
	s_mov_b32 ttmp2, m0
	s_waitcnt lgkmcnt(0)
	s_and_b32 s0, s0, 0x3ff
	s_delay_alu instid0(SALU_CYCLE_1) | instskip(NEXT) | instid1(SALU_CYCLE_1)
	s_bitset1_b32 s0, 10
	s_mov_b32 m0, s0
	s_sendmsg sendmsg(MSG_INTERRUPT)
	s_mov_b32 m0, ttmp2
.LBB8_1548:                             ; =>This Inner Loop Header: Depth=1
	s_sethalt 5
	s_branch .LBB8_1548
.LBB8_1549:
	s_trap 2
	s_sendmsg_rtn_b32 s0, sendmsg(MSG_RTN_GET_DOORBELL)
	s_mov_b32 ttmp2, m0
	s_waitcnt lgkmcnt(0)
	s_and_b32 s0, s0, 0x3ff
	s_delay_alu instid0(SALU_CYCLE_1) | instskip(NEXT) | instid1(SALU_CYCLE_1)
	s_bitset1_b32 s0, 10
	s_mov_b32 m0, s0
	s_sendmsg sendmsg(MSG_INTERRUPT)
	s_mov_b32 m0, ttmp2
.LBB8_1550:                             ; =>This Inner Loop Header: Depth=1
	s_sethalt 5
	s_branch .LBB8_1550
.LBB8_1551:
	s_trap 2
	s_sendmsg_rtn_b32 s0, sendmsg(MSG_RTN_GET_DOORBELL)
	s_mov_b32 ttmp2, m0
	s_waitcnt lgkmcnt(0)
	s_and_b32 s0, s0, 0x3ff
	s_delay_alu instid0(SALU_CYCLE_1) | instskip(NEXT) | instid1(SALU_CYCLE_1)
	s_bitset1_b32 s0, 10
	s_mov_b32 m0, s0
	s_sendmsg sendmsg(MSG_INTERRUPT)
	s_mov_b32 m0, ttmp2
.LBB8_1552:                             ; =>This Inner Loop Header: Depth=1
	s_sethalt 5
	s_branch .LBB8_1552
.LBB8_1553:
	s_trap 2
	s_sendmsg_rtn_b32 s0, sendmsg(MSG_RTN_GET_DOORBELL)
	s_mov_b32 ttmp2, m0
	s_waitcnt lgkmcnt(0)
	s_and_b32 s0, s0, 0x3ff
	s_delay_alu instid0(SALU_CYCLE_1) | instskip(NEXT) | instid1(SALU_CYCLE_1)
	s_bitset1_b32 s0, 10
	s_mov_b32 m0, s0
	s_sendmsg sendmsg(MSG_INTERRUPT)
	s_mov_b32 m0, ttmp2
.LBB8_1554:                             ; =>This Inner Loop Header: Depth=1
	s_sethalt 5
	s_branch .LBB8_1554
.LBB8_1555:
	s_trap 2
	s_sendmsg_rtn_b32 s0, sendmsg(MSG_RTN_GET_DOORBELL)
	s_mov_b32 ttmp2, m0
	s_waitcnt lgkmcnt(0)
	s_and_b32 s0, s0, 0x3ff
	s_delay_alu instid0(SALU_CYCLE_1) | instskip(NEXT) | instid1(SALU_CYCLE_1)
	s_bitset1_b32 s0, 10
	s_mov_b32 m0, s0
	s_sendmsg sendmsg(MSG_INTERRUPT)
	s_mov_b32 m0, ttmp2
.LBB8_1556:                             ; =>This Inner Loop Header: Depth=1
	s_sethalt 5
	s_branch .LBB8_1556
.LBB8_1557:
	s_trap 2
	s_sendmsg_rtn_b32 s0, sendmsg(MSG_RTN_GET_DOORBELL)
	s_mov_b32 ttmp2, m0
	s_waitcnt lgkmcnt(0)
	s_and_b32 s0, s0, 0x3ff
	s_delay_alu instid0(SALU_CYCLE_1) | instskip(NEXT) | instid1(SALU_CYCLE_1)
	s_bitset1_b32 s0, 10
	s_mov_b32 m0, s0
	s_sendmsg sendmsg(MSG_INTERRUPT)
	s_mov_b32 m0, ttmp2
.LBB8_1558:                             ; =>This Inner Loop Header: Depth=1
	s_sethalt 5
	s_branch .LBB8_1558
.LBB8_1559:
	s_trap 2
	s_sendmsg_rtn_b32 s0, sendmsg(MSG_RTN_GET_DOORBELL)
	s_mov_b32 ttmp2, m0
	s_waitcnt lgkmcnt(0)
	s_and_b32 s0, s0, 0x3ff
	s_delay_alu instid0(SALU_CYCLE_1) | instskip(NEXT) | instid1(SALU_CYCLE_1)
	s_bitset1_b32 s0, 10
	s_mov_b32 m0, s0
	s_sendmsg sendmsg(MSG_INTERRUPT)
	s_mov_b32 m0, ttmp2
.LBB8_1560:                             ; =>This Inner Loop Header: Depth=1
	s_sethalt 5
	s_branch .LBB8_1560
.LBB8_1561:
	s_trap 2
	s_sendmsg_rtn_b32 s0, sendmsg(MSG_RTN_GET_DOORBELL)
	s_mov_b32 ttmp2, m0
	s_waitcnt lgkmcnt(0)
	s_and_b32 s0, s0, 0x3ff
	s_delay_alu instid0(SALU_CYCLE_1) | instskip(NEXT) | instid1(SALU_CYCLE_1)
	s_bitset1_b32 s0, 10
	s_mov_b32 m0, s0
	s_sendmsg sendmsg(MSG_INTERRUPT)
	s_mov_b32 m0, ttmp2
.LBB8_1562:                             ; =>This Inner Loop Header: Depth=1
	s_sethalt 5
	s_branch .LBB8_1562
.LBB8_1563:
	s_trap 2
	s_sendmsg_rtn_b32 s0, sendmsg(MSG_RTN_GET_DOORBELL)
	s_mov_b32 ttmp2, m0
	s_waitcnt lgkmcnt(0)
	s_and_b32 s0, s0, 0x3ff
	s_delay_alu instid0(SALU_CYCLE_1) | instskip(NEXT) | instid1(SALU_CYCLE_1)
	s_bitset1_b32 s0, 10
	s_mov_b32 m0, s0
	s_sendmsg sendmsg(MSG_INTERRUPT)
	s_mov_b32 m0, ttmp2
.LBB8_1564:                             ; =>This Inner Loop Header: Depth=1
	s_sethalt 5
	s_branch .LBB8_1564
.LBB8_1565:
	s_trap 2
	s_sendmsg_rtn_b32 s0, sendmsg(MSG_RTN_GET_DOORBELL)
	s_mov_b32 ttmp2, m0
	s_waitcnt lgkmcnt(0)
	s_and_b32 s0, s0, 0x3ff
	s_delay_alu instid0(SALU_CYCLE_1) | instskip(NEXT) | instid1(SALU_CYCLE_1)
	s_bitset1_b32 s0, 10
	s_mov_b32 m0, s0
	s_sendmsg sendmsg(MSG_INTERRUPT)
	s_mov_b32 m0, ttmp2
.LBB8_1566:                             ; =>This Inner Loop Header: Depth=1
	s_sethalt 5
	s_branch .LBB8_1566
.LBB8_1567:
	s_trap 2
	s_sendmsg_rtn_b32 s0, sendmsg(MSG_RTN_GET_DOORBELL)
	s_mov_b32 ttmp2, m0
	s_waitcnt lgkmcnt(0)
	s_and_b32 s0, s0, 0x3ff
	s_delay_alu instid0(SALU_CYCLE_1) | instskip(NEXT) | instid1(SALU_CYCLE_1)
	s_bitset1_b32 s0, 10
	s_mov_b32 m0, s0
	s_sendmsg sendmsg(MSG_INTERRUPT)
	s_mov_b32 m0, ttmp2
.LBB8_1568:                             ; =>This Inner Loop Header: Depth=1
	s_sethalt 5
	s_branch .LBB8_1568
.LBB8_1569:
	s_trap 2
	s_sendmsg_rtn_b32 s0, sendmsg(MSG_RTN_GET_DOORBELL)
	s_mov_b32 ttmp2, m0
	s_waitcnt lgkmcnt(0)
	s_and_b32 s0, s0, 0x3ff
	s_delay_alu instid0(SALU_CYCLE_1) | instskip(NEXT) | instid1(SALU_CYCLE_1)
	s_bitset1_b32 s0, 10
	s_mov_b32 m0, s0
	s_sendmsg sendmsg(MSG_INTERRUPT)
	s_mov_b32 m0, ttmp2
.LBB8_1570:                             ; =>This Inner Loop Header: Depth=1
	s_sethalt 5
	s_branch .LBB8_1570
.LBB8_1571:
	s_trap 2
	s_sendmsg_rtn_b32 s0, sendmsg(MSG_RTN_GET_DOORBELL)
	s_mov_b32 ttmp2, m0
	s_waitcnt lgkmcnt(0)
	s_and_b32 s0, s0, 0x3ff
	s_delay_alu instid0(SALU_CYCLE_1) | instskip(NEXT) | instid1(SALU_CYCLE_1)
	s_bitset1_b32 s0, 10
	s_mov_b32 m0, s0
	s_sendmsg sendmsg(MSG_INTERRUPT)
	s_mov_b32 m0, ttmp2
.LBB8_1572:                             ; =>This Inner Loop Header: Depth=1
	s_sethalt 5
	s_branch .LBB8_1572
.LBB8_1573:
	s_trap 2
	s_sendmsg_rtn_b32 s0, sendmsg(MSG_RTN_GET_DOORBELL)
	s_mov_b32 ttmp2, m0
	s_waitcnt lgkmcnt(0)
	s_and_b32 s0, s0, 0x3ff
	s_delay_alu instid0(SALU_CYCLE_1) | instskip(NEXT) | instid1(SALU_CYCLE_1)
	s_bitset1_b32 s0, 10
	s_mov_b32 m0, s0
	s_sendmsg sendmsg(MSG_INTERRUPT)
	s_mov_b32 m0, ttmp2
.LBB8_1574:                             ; =>This Inner Loop Header: Depth=1
	s_sethalt 5
	s_branch .LBB8_1574
.LBB8_1575:
	s_trap 2
	s_sendmsg_rtn_b32 s0, sendmsg(MSG_RTN_GET_DOORBELL)
	s_mov_b32 ttmp2, m0
	s_waitcnt lgkmcnt(0)
	s_and_b32 s0, s0, 0x3ff
	s_delay_alu instid0(SALU_CYCLE_1) | instskip(NEXT) | instid1(SALU_CYCLE_1)
	s_bitset1_b32 s0, 10
	s_mov_b32 m0, s0
	s_sendmsg sendmsg(MSG_INTERRUPT)
	s_mov_b32 m0, ttmp2
.LBB8_1576:                             ; =>This Inner Loop Header: Depth=1
	s_sethalt 5
	s_branch .LBB8_1576
.LBB8_1577:
	s_trap 2
	s_sendmsg_rtn_b32 s0, sendmsg(MSG_RTN_GET_DOORBELL)
	s_mov_b32 ttmp2, m0
	s_waitcnt lgkmcnt(0)
	s_and_b32 s0, s0, 0x3ff
	s_delay_alu instid0(SALU_CYCLE_1) | instskip(NEXT) | instid1(SALU_CYCLE_1)
	s_bitset1_b32 s0, 10
	s_mov_b32 m0, s0
	s_sendmsg sendmsg(MSG_INTERRUPT)
	s_mov_b32 m0, ttmp2
.LBB8_1578:                             ; =>This Inner Loop Header: Depth=1
	s_sethalt 5
	s_branch .LBB8_1578
.LBB8_1579:
	s_trap 2
	s_sendmsg_rtn_b32 s0, sendmsg(MSG_RTN_GET_DOORBELL)
	s_mov_b32 ttmp2, m0
	s_waitcnt lgkmcnt(0)
	s_and_b32 s0, s0, 0x3ff
	s_delay_alu instid0(SALU_CYCLE_1) | instskip(NEXT) | instid1(SALU_CYCLE_1)
	s_bitset1_b32 s0, 10
	s_mov_b32 m0, s0
	s_sendmsg sendmsg(MSG_INTERRUPT)
	s_mov_b32 m0, ttmp2
.LBB8_1580:                             ; =>This Inner Loop Header: Depth=1
	s_sethalt 5
	s_branch .LBB8_1580
.LBB8_1581:
	s_trap 2
	s_sendmsg_rtn_b32 s0, sendmsg(MSG_RTN_GET_DOORBELL)
	s_mov_b32 ttmp2, m0
	s_waitcnt lgkmcnt(0)
	s_and_b32 s0, s0, 0x3ff
	s_delay_alu instid0(SALU_CYCLE_1) | instskip(NEXT) | instid1(SALU_CYCLE_1)
	s_bitset1_b32 s0, 10
	s_mov_b32 m0, s0
	s_sendmsg sendmsg(MSG_INTERRUPT)
	s_mov_b32 m0, ttmp2
.LBB8_1582:                             ; =>This Inner Loop Header: Depth=1
	s_sethalt 5
	s_branch .LBB8_1582
.LBB8_1583:
	s_trap 2
	s_sendmsg_rtn_b32 s0, sendmsg(MSG_RTN_GET_DOORBELL)
	s_mov_b32 ttmp2, m0
	s_waitcnt lgkmcnt(0)
	s_and_b32 s0, s0, 0x3ff
	s_delay_alu instid0(SALU_CYCLE_1) | instskip(NEXT) | instid1(SALU_CYCLE_1)
	s_bitset1_b32 s0, 10
	s_mov_b32 m0, s0
	s_sendmsg sendmsg(MSG_INTERRUPT)
	s_mov_b32 m0, ttmp2
.LBB8_1584:                             ; =>This Inner Loop Header: Depth=1
	s_sethalt 5
	s_branch .LBB8_1584
.LBB8_1585:
	s_trap 2
	s_sendmsg_rtn_b32 s0, sendmsg(MSG_RTN_GET_DOORBELL)
	s_mov_b32 ttmp2, m0
	s_waitcnt lgkmcnt(0)
	s_and_b32 s0, s0, 0x3ff
	s_delay_alu instid0(SALU_CYCLE_1) | instskip(NEXT) | instid1(SALU_CYCLE_1)
	s_bitset1_b32 s0, 10
	s_mov_b32 m0, s0
	s_sendmsg sendmsg(MSG_INTERRUPT)
	s_mov_b32 m0, ttmp2
.LBB8_1586:                             ; =>This Inner Loop Header: Depth=1
	s_sethalt 5
	s_branch .LBB8_1586
.LBB8_1587:
	s_trap 2
	s_sendmsg_rtn_b32 s0, sendmsg(MSG_RTN_GET_DOORBELL)
	s_mov_b32 ttmp2, m0
	s_waitcnt lgkmcnt(0)
	s_and_b32 s0, s0, 0x3ff
	s_delay_alu instid0(SALU_CYCLE_1) | instskip(NEXT) | instid1(SALU_CYCLE_1)
	s_bitset1_b32 s0, 10
	s_mov_b32 m0, s0
	s_sendmsg sendmsg(MSG_INTERRUPT)
	s_mov_b32 m0, ttmp2
.LBB8_1588:                             ; =>This Inner Loop Header: Depth=1
	s_sethalt 5
	s_branch .LBB8_1588
.LBB8_1589:
	s_trap 2
	s_sendmsg_rtn_b32 s0, sendmsg(MSG_RTN_GET_DOORBELL)
	s_mov_b32 ttmp2, m0
	s_waitcnt lgkmcnt(0)
	s_and_b32 s0, s0, 0x3ff
	s_delay_alu instid0(SALU_CYCLE_1) | instskip(NEXT) | instid1(SALU_CYCLE_1)
	s_bitset1_b32 s0, 10
	s_mov_b32 m0, s0
	s_sendmsg sendmsg(MSG_INTERRUPT)
	s_mov_b32 m0, ttmp2
.LBB8_1590:                             ; =>This Inner Loop Header: Depth=1
	s_sethalt 5
	s_branch .LBB8_1590
.Lfunc_end8:
	.size	_ZN12_GLOBAL__N_17runRingIa7FuncSumIaE11ProtoSimpleILi1ELi1ELi0ELi2ELi0ELi0EELi0ELi2ELi0EEEviiP15ncclDevWorkColl, .Lfunc_end8-_ZN12_GLOBAL__N_17runRingIa7FuncSumIaE11ProtoSimpleILi1ELi1ELi0ELi2ELi0ELi0EELi0ELi2ELi0EEEviiP15ncclDevWorkColl
                                        ; -- End function
	.section	.AMDGPU.csdata,"",@progbits
; Function info:
; codeLenInByte = 46344
; NumSgprs: 43
; NumVgprs: 166
; ScratchSize: 80
; MemoryBound: 1
	.text
	.p2align	2                               ; -- Begin function _Z46ncclDevFunc_Broadcast_RING_SIMPLE_Sum_i8_0_0_2v
	.type	_Z46ncclDevFunc_Broadcast_RING_SIMPLE_Sum_i8_0_0_2v,@function
_Z46ncclDevFunc_Broadcast_RING_SIMPLE_Sum_i8_0_0_2v: ; @_Z46ncclDevFunc_Broadcast_RING_SIMPLE_Sum_i8_0_0_2v
; %bb.0:
	s_waitcnt vmcnt(0) expcnt(0) lgkmcnt(0)
	s_mov_b32 s0, s33
	s_mov_b32 s33, s32
	s_or_saveexec_b32 s1, -1
	scratch_store_b32 off, v40, s33 offset:8 ; 4-byte Folded Spill
	s_mov_b32 exec_lo, s1
	v_writelane_b32 v40, s0, 15
	s_add_i32 s32, s32, 16
	s_clause 0x1
	scratch_store_b32 off, v41, s33 offset:4
	; meta instruction
	scratch_store_b32 off, v42, s33
	v_writelane_b32 v40, s34, 0
	v_writelane_b32 v40, s35, 1
	;; [unrolled: 1-line block ×15, first 2 shown]
	s_cbranch_execnz .LBB9_13
; %bb.1:
	ds_load_b32 v0, v0
	s_waitcnt lgkmcnt(0)
	v_cmp_gt_i32_e32 vcc_lo, 1, v0
	s_cbranch_vccnz .LBB9_12
; %bb.2:
	v_and_b32_e32 v166, 0x3ff, v31
	s_mov_b32 s46, 0
	s_mov_b64 s[44:45], src_shared_base
.LBB9_3:                                ; =>This Inner Loop Header: Depth=1
	s_cbranch_execnz .LBB9_15
; %bb.4:                                ;   in Loop: Header=BB9_3 Depth=1
	ds_load_b32 v0, v0
	s_cmp_eq_u32 s46, 0
	s_cbranch_scc1 .LBB9_8
; %bb.5:                                ;   in Loop: Header=BB9_3 Depth=1
	s_cbranch_execnz .LBB9_19
; %bb.6:                                ;   in Loop: Header=BB9_3 Depth=1
	s_waitcnt lgkmcnt(0)
	ds_load_b32 v1, v0
	s_waitcnt lgkmcnt(0)
	v_xor_b32_e32 v1, v1, v0
	s_delay_alu instid0(VALU_DEP_1) | instskip(NEXT) | instid1(VALU_DEP_1)
	v_and_b32_e32 v1, 0xff0000, v1
	v_cmp_eq_u32_e32 vcc_lo, 0, v1
	s_cbranch_vccnz .LBB9_8
; %bb.7:                                ;   in Loop: Header=BB9_3 Depth=1
	s_waitcnt_vscnt null, 0x0
	s_barrier
	buffer_gl0_inv
	ds_load_b32 v0, v0
.LBB9_8:                                ;   in Loop: Header=BB9_3 Depth=1
	s_waitcnt lgkmcnt(0)
	v_lshrrev_b32_e32 v0, 11, v0
	s_mov_b32 s44, exec_lo
	s_delay_alu instid0(VALU_DEP_1) | instskip(NEXT) | instid1(VALU_DEP_1)
	v_and_b32_e32 v1, 0x1fe0, v0
	v_cmpx_lt_u32_e64 v166, v1
	s_cbranch_execz .LBB9_10
; %bb.9:                                ;   in Loop: Header=BB9_3 Depth=1
	v_dual_mov_b32 v167, v31 :: v_dual_mov_b32 v0, v166
	v_mov_b32_e32 v3, s45
	s_getpc_b64 s[0:1]
	s_add_u32 s0, s0, _ZN12_GLOBAL__N_17runRingIa7FuncSumIaE11ProtoSimpleILi1ELi1ELi0ELi2ELi0ELi0EELi0ELi2ELi0EEEviiP15ncclDevWorkColl@rel32@lo+4
	s_addc_u32 s1, s1, _ZN12_GLOBAL__N_17runRingIa7FuncSumIaE11ProtoSimpleILi1ELi1ELi0ELi2ELi0ELi0EELi0ELi2ELi0EEEviiP15ncclDevWorkColl@rel32@hi+12
	s_mov_b64 s[42:43], s[8:9]
	s_mov_b32 s41, s12
	s_swappc_b64 s[30:31], s[0:1]
	v_mov_b32_e32 v31, v167
	s_mov_b32 s12, s41
	s_mov_b64 s[8:9], s[42:43]
.LBB9_10:                               ;   in Loop: Header=BB9_3 Depth=1
	s_or_b32 exec_lo, exec_lo, s44
	s_cbranch_execnz .LBB9_17
; %bb.11:                               ;   in Loop: Header=BB9_3 Depth=1
	ds_load_b32 v0, v0
	s_add_i32 s46, s46, 1
	s_waitcnt lgkmcnt(0)
	v_cmp_lt_i32_e32 vcc_lo, s46, v0
	s_cbranch_vccnz .LBB9_3
.LBB9_12:
	s_clause 0x1
	scratch_load_b32 v42, off, s33
	scratch_load_b32 v41, off, s33 offset:4
	v_readlane_b32 s30, v40, 13
	v_readlane_b32 s31, v40, 14
	v_readlane_b32 s46, v40, 12
	v_readlane_b32 s45, v40, 11
	v_readlane_b32 s44, v40, 10
	v_readlane_b32 s43, v40, 9
	v_readlane_b32 s42, v40, 8
	v_readlane_b32 s41, v40, 7
	v_readlane_b32 s40, v40, 6
	v_readlane_b32 s39, v40, 5
	v_readlane_b32 s38, v40, 4
	v_readlane_b32 s37, v40, 3
	v_readlane_b32 s36, v40, 2
	v_readlane_b32 s35, v40, 1
	v_readlane_b32 s34, v40, 0
	v_readlane_b32 s0, v40, 15
	s_or_saveexec_b32 s1, -1
	scratch_load_b32 v40, off, s33 offset:8 ; 4-byte Folded Reload
	s_mov_b32 exec_lo, s1
	s_add_i32 s32, s32, -16
	s_mov_b32 s33, s0
	s_waitcnt vmcnt(0)
	s_setpc_b64 s[30:31]
.LBB9_13:
	s_trap 2
	s_sendmsg_rtn_b32 s0, sendmsg(MSG_RTN_GET_DOORBELL)
	s_mov_b32 ttmp2, m0
	s_waitcnt lgkmcnt(0)
	s_and_b32 s0, s0, 0x3ff
	s_delay_alu instid0(SALU_CYCLE_1) | instskip(NEXT) | instid1(SALU_CYCLE_1)
	s_bitset1_b32 s0, 10
	s_mov_b32 m0, s0
	s_sendmsg sendmsg(MSG_INTERRUPT)
	s_mov_b32 m0, ttmp2
.LBB9_14:                               ; =>This Inner Loop Header: Depth=1
	s_sethalt 5
	s_branch .LBB9_14
.LBB9_15:
	s_trap 2
	s_sendmsg_rtn_b32 s0, sendmsg(MSG_RTN_GET_DOORBELL)
	s_mov_b32 ttmp2, m0
	s_waitcnt lgkmcnt(0)
	s_and_b32 s0, s0, 0x3ff
	s_delay_alu instid0(SALU_CYCLE_1) | instskip(NEXT) | instid1(SALU_CYCLE_1)
	s_bitset1_b32 s0, 10
	s_mov_b32 m0, s0
	s_sendmsg sendmsg(MSG_INTERRUPT)
	s_mov_b32 m0, ttmp2
.LBB9_16:                               ; =>This Inner Loop Header: Depth=1
	s_sethalt 5
	s_branch .LBB9_16
.LBB9_17:
	s_trap 2
	s_sendmsg_rtn_b32 s0, sendmsg(MSG_RTN_GET_DOORBELL)
	s_mov_b32 ttmp2, m0
	s_waitcnt lgkmcnt(0)
	s_and_b32 s0, s0, 0x3ff
	s_delay_alu instid0(SALU_CYCLE_1) | instskip(NEXT) | instid1(SALU_CYCLE_1)
	s_bitset1_b32 s0, 10
	s_mov_b32 m0, s0
	s_sendmsg sendmsg(MSG_INTERRUPT)
	s_mov_b32 m0, ttmp2
.LBB9_18:                               ; =>This Inner Loop Header: Depth=1
	s_sethalt 5
	s_branch .LBB9_18
.LBB9_19:
	s_trap 2
	s_sendmsg_rtn_b32 s0, sendmsg(MSG_RTN_GET_DOORBELL)
	s_mov_b32 ttmp2, m0
	s_waitcnt lgkmcnt(0)
	s_and_b32 s0, s0, 0x3ff
	s_delay_alu instid0(SALU_CYCLE_1) | instskip(NEXT) | instid1(SALU_CYCLE_1)
	s_bitset1_b32 s0, 10
	s_mov_b32 m0, s0
	s_sendmsg sendmsg(MSG_INTERRUPT)
	s_mov_b32 m0, ttmp2
.LBB9_20:                               ; =>This Inner Loop Header: Depth=1
	s_sethalt 5
	s_branch .LBB9_20
.Lfunc_end9:
	.size	_Z46ncclDevFunc_Broadcast_RING_SIMPLE_Sum_i8_0_0_2v, .Lfunc_end9-_Z46ncclDevFunc_Broadcast_RING_SIMPLE_Sum_i8_0_0_2v
                                        ; -- End function
	.section	.AMDGPU.csdata,"",@progbits
; Function info:
; codeLenInByte = 820
; NumSgprs: 49
; NumVgprs: 168
; ScratchSize: 96
; MemoryBound: 0
	.text
	.p2align	2                               ; -- Begin function _ZN12_GLOBAL__N_17runRingIa7FuncSumIaE7ProtoLLLi0ELi4ELi0EEEviiP15ncclDevWorkColl
	.type	_ZN12_GLOBAL__N_17runRingIa7FuncSumIaE7ProtoLLLi0ELi4ELi0EEEviiP15ncclDevWorkColl,@function
_ZN12_GLOBAL__N_17runRingIa7FuncSumIaE7ProtoLLLi0ELi4ELi0EEEviiP15ncclDevWorkColl: ; @_ZN12_GLOBAL__N_17runRingIa7FuncSumIaE7ProtoLLLi0ELi4ELi0EEEviiP15ncclDevWorkColl
; %bb.0:
	s_waitcnt vmcnt(0) expcnt(0) lgkmcnt(0)
	s_cbranch_execnz .LBB10_15
; %bb.1:
	ds_load_b64 v[4:5], v0
	s_clause 0x1
	flat_load_b64 v[20:21], v[2:3]
	flat_load_u16 v9, v[2:3] offset:8
	ds_load_b32 v6, v0
	s_mov_b32 s0, exec_lo
                                        ; implicit-def: $vgpr16_vgpr17
                                        ; implicit-def: $vgpr18_vgpr19
	s_waitcnt lgkmcnt(3)
	flat_load_b64 v[14:15], v[4:5]
                                        ; implicit-def: $vgpr4_vgpr5
	s_waitcnt vmcnt(2) lgkmcnt(3)
	v_dual_mov_b32 v8, v21 :: v_dual_and_b32 v7, 0xff, v20
	s_waitcnt lgkmcnt(1)
	s_delay_alu instid0(VALU_DEP_1)
	v_cmpx_ne_u32_e64 v7, v6
	s_xor_b32 s0, exec_lo, s0
	s_cbranch_execz .LBB10_7
; %bb.2:
	v_bfe_u32 v11, v20, 8, 8
	v_not_b32_e32 v10, v7
	s_mov_b32 s1, exec_lo
                                        ; implicit-def: $vgpr16_vgpr17
                                        ; implicit-def: $vgpr4_vgpr5
                                        ; implicit-def: $vgpr18_vgpr19
	s_delay_alu instid0(VALU_DEP_2)
	v_cmpx_ne_u32_e64 v11, v6
	s_xor_b32 s1, exec_lo, s1
	s_cbranch_execz .LBB10_4
; %bb.3:
	s_clause 0x1
	flat_load_b128 v[21:24], v[2:3] offset:72
	flat_load_b64 v[4:5], v[2:3] offset:96
	v_add_nc_u32_e32 v6, v6, v10
                                        ; implicit-def: $vgpr11
                                        ; implicit-def: $vgpr10
	s_waitcnt vmcnt(0) lgkmcnt(0)
	v_lshrrev_b64 v[16:17], 21, v[4:5]
	v_dual_mov_b32 v4, v23 :: v_dual_mov_b32 v5, v24
	s_delay_alu instid0(VALU_DEP_3) | instskip(SKIP_2) | instid1(VALU_DEP_3)
	v_ashrrev_i32_e32 v7, 31, v6
	v_mad_u64_u32 v[18:19], null, v23, v6, v[21:22]
	v_mul_lo_u32 v6, v24, v6
	v_mul_lo_u32 v7, v23, v7
	s_delay_alu instid0(VALU_DEP_1)
	v_add3_u32 v19, v6, v19, v7
.LBB10_4:
	s_and_not1_saveexec_b32 s1, s1
	s_cbranch_execz .LBB10_6
; %bb.5:
	s_clause 0x1
	flat_load_b128 v[21:24], v[2:3] offset:72
	flat_load_b128 v[4:7], v[2:3] offset:88
	s_waitcnt vmcnt(0) lgkmcnt(0)
	v_add_nc_u32_e32 v6, v11, v10
	s_delay_alu instid0(VALU_DEP_1) | instskip(NEXT) | instid1(VALU_DEP_1)
	v_ashrrev_i32_e32 v10, 31, v6
	v_mul_lo_u32 v10, v23, v10
	v_mad_u64_u32 v[18:19], null, v23, v6, v[21:22]
	v_mul_lo_u32 v6, v24, v6
	v_lshrrev_b32_e32 v16, 10, v7
	s_delay_alu instid0(VALU_DEP_2)
	v_add3_u32 v19, v6, v19, v10
.LBB10_6:
	s_or_b32 exec_lo, exec_lo, s1
.LBB10_7:
	s_and_not1_saveexec_b32 s0, s0
; %bb.8:
	s_clause 0x1
	flat_load_b64 v[4:5], v[2:3] offset:72
	flat_load_b64 v[16:17], v[2:3] offset:96
	v_mov_b32_e32 v18, 0
	v_mov_b32_e32 v19, 0
; %bb.9:
	s_or_b32 exec_lo, exec_lo, s0
	flat_load_b128 v[10:13], v[2:3] offset:16
	v_and_b32_e32 v2, 0x44000000, v20
	s_waitcnt vmcnt(1) lgkmcnt(1)
	v_bfe_u32 v17, v8, 1, 30
	s_mov_b32 s0, exec_lo
	s_delay_alu instid0(VALU_DEP_2) | instskip(NEXT) | instid1(VALU_DEP_1)
	v_cmp_eq_u32_e64 s10, 0x44000000, v2
	v_cndmask_b32_e64 v2, v1, 32, s10
	s_delay_alu instid0(VALU_DEP_1)
	v_cmpx_ge_i32_e64 v0, v2
	s_xor_b32 s1, exec_lo, s0
	s_cbranch_execz .LBB10_43
; %bb.10:
	s_waitcnt vmcnt(0) lgkmcnt(0)
	v_cmp_ne_u64_e32 vcc_lo, v[12:13], v[10:11]
	v_cmp_eq_u32_e64 s0, v14, v17
	s_delay_alu instid0(VALU_DEP_1) | instskip(NEXT) | instid1(SALU_CYCLE_1)
	s_and_b32 s0, vcc_lo, s0
	s_and_saveexec_b32 s2, s0
	s_cbranch_execz .LBB10_42
; %bb.11:
	v_sub_nc_u32_e32 v8, v0, v2
	v_add_co_u32 v3, vcc_lo, v12, v18
	v_add_co_ci_u32_e32 v6, vcc_lo, v13, v19, vcc_lo
	s_delay_alu instid0(VALU_DEP_3) | instskip(SKIP_2) | instid1(VALU_DEP_3)
	v_ashrrev_i32_e32 v0, 31, v8
	v_add_co_u32 v14, vcc_lo, v10, v18
	v_add_co_ci_u32_e32 v15, vcc_lo, v11, v19, vcc_lo
	v_lshrrev_b32_e32 v0, 27, v0
	s_mov_b32 s0, exec_lo
	s_delay_alu instid0(VALU_DEP_1) | instskip(NEXT) | instid1(VALU_DEP_1)
	v_add_nc_u32_e32 v0, v8, v0
	v_and_b32_e32 v7, 0xffffffe0, v0
	s_delay_alu instid0(VALU_DEP_1) | instskip(SKIP_1) | instid1(VALU_DEP_2)
	v_sub_nc_u32_e32 v17, v8, v7
	v_mov_b32_e32 v7, 0
	v_cmpx_gt_i32_e32 1, v17
; %bb.12:
	v_or_b32_e32 v7, v3, v14
	s_delay_alu instid0(VALU_DEP_1) | instskip(NEXT) | instid1(VALU_DEP_1)
	v_and_b32_e32 v7, 15, v7
	v_cmp_ne_u32_e32 vcc_lo, 0, v7
	v_cndmask_b32_e64 v7, 0, 1, vcc_lo
; %bb.13:
	s_or_b32 exec_lo, exec_lo, s0
	;;#ASMSTART
	;;#ASMEND
	s_delay_alu instid0(VALU_DEP_1)
	v_cmp_ne_u32_e32 vcc_lo, 0, v7
	v_ashrrev_i32_e32 v9, 5, v0
	v_sub_nc_u32_e32 v16, v1, v2
	s_cbranch_vccz .LBB10_17
; %bb.14:
	v_mov_b32_e32 v0, 0
	v_mov_b32_e32 v1, 0
	s_mov_b32 s0, -1
	s_delay_alu instid0(SALU_CYCLE_1)
	s_and_b32 exec_lo, exec_lo, s0
	s_cbranch_execnz .LBB10_34
	s_branch .LBB10_42
.LBB10_15:
	s_trap 2
	s_sendmsg_rtn_b32 s0, sendmsg(MSG_RTN_GET_DOORBELL)
	s_mov_b32 ttmp2, m0
	s_waitcnt lgkmcnt(0)
	s_and_b32 s0, s0, 0x3ff
	s_delay_alu instid0(SALU_CYCLE_1) | instskip(NEXT) | instid1(SALU_CYCLE_1)
	s_bitset1_b32 s0, 10
	s_mov_b32 m0, s0
	s_sendmsg sendmsg(MSG_INTERRUPT)
	s_mov_b32 m0, ttmp2
.LBB10_16:                              ; =>This Inner Loop Header: Depth=1
	s_sethalt 5
	s_branch .LBB10_16
.LBB10_17:
	v_ashrrev_i32_e32 v0, 31, v5
	s_delay_alu instid0(VALU_DEP_3) | instskip(SKIP_1) | instid1(VALU_DEP_2)
	v_ashrrev_i32_e32 v2, 31, v9
	s_mov_b32 s0, exec_lo
	v_lshrrev_b32_e32 v0, 20, v0
	s_delay_alu instid0(VALU_DEP_1) | instskip(SKIP_1) | instid1(VALU_DEP_1)
	v_add_co_u32 v0, vcc_lo, v4, v0
	v_add_co_ci_u32_e32 v1, vcc_lo, 0, v5, vcc_lo
	v_ashrrev_i64 v[0:1], 12, v[0:1]
	s_delay_alu instid0(VALU_DEP_1) | instskip(NEXT) | instid1(VALU_DEP_2)
	v_sub_co_u32 v7, vcc_lo, v0, v9
	v_sub_co_ci_u32_e32 v8, vcc_lo, v1, v2, vcc_lo
	s_delay_alu instid0(VALU_DEP_1)
	v_cmpx_lt_i64_e32 0, v[7:8]
	s_cbranch_execz .LBB10_21
; %bb.18:
	v_ashrrev_i32_e32 v2, 31, v16
	v_lshlrev_b32_e32 v20, 4, v17
	s_mov_b32 s3, 0
	s_delay_alu instid0(VALU_DEP_2) | instskip(NEXT) | instid1(VALU_DEP_2)
	v_lshrrev_b32_e32 v2, 27, v2
	v_lshl_add_u32 v9, v9, 12, v20
	s_delay_alu instid0(VALU_DEP_2) | instskip(NEXT) | instid1(VALU_DEP_2)
	v_add_nc_u32_e32 v2, v16, v2
	v_ashrrev_i32_e32 v20, 31, v9
	s_delay_alu instid0(VALU_DEP_2) | instskip(NEXT) | instid1(VALU_DEP_1)
	v_ashrrev_i32_e32 v2, 5, v2
	v_lshl_add_u32 v22, v2, 12, 0xfffff000
	v_ashrrev_i32_e32 v21, 31, v2
	s_delay_alu instid0(VALU_DEP_2) | instskip(SKIP_1) | instid1(VALU_DEP_2)
	v_ashrrev_i32_e32 v23, 31, v22
	v_add_co_u32 v22, vcc_lo, 0x1000, v22
	v_add_co_ci_u32_e32 v23, vcc_lo, 0, v23, vcc_lo
.LBB10_19:                              ; =>This Inner Loop Header: Depth=1
	v_add_co_u32 v68, vcc_lo, v9, v3
	v_add_co_ci_u32_e32 v69, vcc_lo, v20, v6, vcc_lo
	v_add_co_u32 v80, vcc_lo, v9, v14
	v_add_co_ci_u32_e32 v81, vcc_lo, v20, v15, vcc_lo
	s_clause 0x7
	global_load_b128 v[24:27], v[68:69], off slc dlc
	global_load_b128 v[28:31], v[68:69], off offset:512 slc dlc
	global_load_b128 v[32:35], v[68:69], off offset:1024 slc dlc
	;; [unrolled: 1-line block ×7, first 2 shown]
	v_sub_co_u32 v7, vcc_lo, v7, v2
	v_sub_co_ci_u32_e32 v8, vcc_lo, v8, v21, vcc_lo
	v_add_co_u32 v3, vcc_lo, v3, v22
	v_add_co_ci_u32_e32 v6, vcc_lo, v6, v23, vcc_lo
	v_add_co_u32 v14, vcc_lo, v14, v22
	v_add_co_ci_u32_e32 v15, vcc_lo, v15, v23, vcc_lo
	v_cmp_gt_i64_e32 vcc_lo, 1, v[7:8]
	s_waitcnt vmcnt(7)
	global_store_b128 v[80:81], v[24:27], off glc slc dlc
	s_waitcnt vmcnt(6)
	global_store_b128 v[80:81], v[28:31], off offset:512 glc slc dlc
	s_waitcnt vmcnt(5)
	global_store_b128 v[80:81], v[32:35], off offset:1024 glc slc dlc
	;; [unrolled: 2-line block ×7, first 2 shown]
	s_or_b32 s3, vcc_lo, s3
	s_delay_alu instid0(SALU_CYCLE_1)
	s_and_not1_b32 exec_lo, exec_lo, s3
	s_cbranch_execnz .LBB10_19
; %bb.20:
	s_or_b32 exec_lo, exec_lo, s3
.LBB10_21:
	s_delay_alu instid0(SALU_CYCLE_1)
	s_or_b32 exec_lo, exec_lo, s0
	v_lshlrev_b64 v[14:15], 12, v[0:1]
	v_mov_b32_e32 v0, 0
	v_mov_b32_e32 v1, 0
	s_mov_b32 s0, 0
	s_mov_b32 s3, exec_lo
                                        ; implicit-def: $vgpr8
                                        ; implicit-def: $vgpr9
	s_delay_alu instid0(VALU_DEP_3)
	v_cmpx_ne_u64_e64 v[4:5], v[14:15]
	s_cbranch_execz .LBB10_33
; %bb.22:
	v_sub_co_u32 v20, vcc_lo, v4, v14
	v_sub_co_ci_u32_e32 v21, vcc_lo, v5, v15, vcc_lo
	v_mov_b32_e32 v1, 0
	s_delay_alu instid0(VALU_DEP_2) | instskip(NEXT) | instid1(VALU_DEP_1)
	v_ashrrev_i32_e32 v0, 31, v21
	v_lshrrev_b32_e32 v0, 23, v0
	s_delay_alu instid0(VALU_DEP_1) | instskip(SKIP_1) | instid1(VALU_DEP_2)
	v_add_co_u32 v5, vcc_lo, v20, v0
	v_add_co_ci_u32_e32 v6, vcc_lo, 0, v21, vcc_lo
	v_and_b32_e32 v0, 0xfffffe00, v5
	s_delay_alu instid0(VALU_DEP_2) | instskip(NEXT) | instid1(VALU_DEP_2)
	v_ashrrev_i64 v[8:9], 9, v[5:6]
	v_sub_co_u32 v2, vcc_lo, v20, v0
	v_add_co_u32 v5, s0, v0, v14
	v_sub_co_ci_u32_e32 v3, vcc_lo, v21, v6, vcc_lo
	v_add_co_ci_u32_e64 v6, s0, v6, v15, s0
	s_mov_b32 s0, exec_lo
	s_delay_alu instid0(VALU_DEP_2)
	v_cmpx_lt_i64_e32 15, v[2:3]
; %bb.23:
	v_and_b32_e32 v0, 15, v4
	s_delay_alu instid0(VALU_DEP_1) | instskip(SKIP_3) | instid1(VALU_DEP_4)
	v_sub_co_u32 v2, vcc_lo, v2, v0
	v_subrev_co_ci_u32_e32 v3, vcc_lo, 0, v3, vcc_lo
	v_add_co_u32 v8, vcc_lo, v8, 1
	v_add_co_ci_u32_e32 v9, vcc_lo, 0, v9, vcc_lo
	v_add_co_u32 v5, vcc_lo, v2, v5
	s_delay_alu instid0(VALU_DEP_4)
	v_add_co_ci_u32_e32 v6, vcc_lo, v3, v6, vcc_lo
	v_dual_mov_b32 v3, v1 :: v_dual_mov_b32 v2, v0
; %bb.24:
	s_or_b32 exec_lo, exec_lo, s0
	v_lshlrev_b32_e32 v0, 5, v7
	s_mov_b32 s4, exec_lo
	s_delay_alu instid0(VALU_DEP_1) | instskip(NEXT) | instid1(VALU_DEP_1)
	v_sub_nc_u32_e32 v0, v17, v0
	v_ashrrev_i32_e32 v1, 31, v0
	s_delay_alu instid0(VALU_DEP_1) | instskip(NEXT) | instid1(VALU_DEP_1)
	v_lshrrev_b32_e32 v1, 27, v1
	v_add_nc_u32_e32 v1, v0, v1
	s_delay_alu instid0(VALU_DEP_1) | instskip(SKIP_1) | instid1(VALU_DEP_2)
	v_and_b32_e32 v4, 0xffffffe0, v1
	v_ashrrev_i32_e32 v7, 5, v1
	v_sub_nc_u32_e32 v4, v0, v4
	s_delay_alu instid0(VALU_DEP_2) | instskip(NEXT) | instid1(VALU_DEP_2)
	v_ashrrev_i32_e32 v17, 31, v7
	v_lshlrev_b32_e32 v0, 4, v4
	s_delay_alu instid0(VALU_DEP_1) | instskip(SKIP_1) | instid1(VALU_DEP_1)
	v_lshl_add_u32 v22, v7, 9, v0
	v_sub_co_u32 v7, s0, v8, v7
	v_sub_co_ci_u32_e64 v8, s0, v9, v17, s0
	s_delay_alu instid0(VALU_DEP_3) | instskip(SKIP_1) | instid1(VALU_DEP_2)
	v_ashrrev_i32_e32 v23, 31, v22
	v_sub_co_u32 v0, vcc_lo, v20, v22
	v_sub_co_ci_u32_e32 v1, vcc_lo, v21, v23, vcc_lo
	s_delay_alu instid0(VALU_DEP_1)
	v_cmpx_lt_i64_e32 15, v[0:1]
	s_cbranch_execz .LBB10_28
; %bb.25:
	v_ashrrev_i32_e32 v9, 31, v16
	v_add_co_u32 v24, vcc_lo, v18, v14
	v_add_co_ci_u32_e32 v25, vcc_lo, v19, v15, vcc_lo
	s_delay_alu instid0(VALU_DEP_3) | instskip(SKIP_1) | instid1(VALU_DEP_1)
	v_lshrrev_b32_e32 v9, 27, v9
	s_mov_b32 s5, 0
	v_add_nc_u32_e32 v9, v16, v9
	s_delay_alu instid0(VALU_DEP_1) | instskip(NEXT) | instid1(VALU_DEP_1)
	v_ashrrev_i32_e32 v9, 5, v9
	v_lshlrev_b32_e32 v17, 9, v9
	v_ashrrev_i32_e32 v14, 31, v9
	s_delay_alu instid0(VALU_DEP_2) | instskip(SKIP_1) | instid1(VALU_DEP_2)
	v_add_nc_u32_e32 v20, 0xfffffe00, v17
	v_ashrrev_i32_e32 v15, 31, v17
	v_ashrrev_i32_e32 v21, 31, v20
	v_add_co_u32 v20, vcc_lo, 0x200, v20
	s_delay_alu instid0(VALU_DEP_2)
	v_add_co_ci_u32_e32 v21, vcc_lo, 0, v21, vcc_lo
	v_add_co_u32 v22, vcc_lo, v24, v22
	v_add_co_ci_u32_e32 v23, vcc_lo, v25, v23, vcc_lo
	.p2align	6
.LBB10_26:                              ; =>This Inner Loop Header: Depth=1
	s_delay_alu instid0(VALU_DEP_2) | instskip(NEXT) | instid1(VALU_DEP_2)
	v_add_co_u32 v24, vcc_lo, v12, v22
	v_add_co_ci_u32_e32 v25, vcc_lo, v13, v23, vcc_lo
	v_add_co_u32 v28, vcc_lo, v10, v22
	v_add_co_ci_u32_e32 v29, vcc_lo, v11, v23, vcc_lo
	global_load_b128 v[24:27], v[24:25], off slc dlc
	v_sub_co_u32 v0, vcc_lo, v0, v17
	v_sub_co_ci_u32_e32 v1, vcc_lo, v1, v15, vcc_lo
	v_sub_co_u32 v7, vcc_lo, v7, v9
	v_sub_co_ci_u32_e32 v8, vcc_lo, v8, v14, vcc_lo
	s_delay_alu instid0(VALU_DEP_3) | instskip(SKIP_1) | instid1(VALU_DEP_1)
	v_cmp_gt_i64_e32 vcc_lo, 16, v[0:1]
	v_add_co_u32 v22, s0, v22, v20
	v_add_co_ci_u32_e64 v23, s0, v23, v21, s0
	s_or_b32 s5, vcc_lo, s5
	s_waitcnt vmcnt(0)
	global_store_b128 v[28:29], v[24:27], off glc slc dlc
	s_and_not1_b32 exec_lo, exec_lo, s5
	s_cbranch_execnz .LBB10_26
; %bb.27:
	s_or_b32 exec_lo, exec_lo, s5
.LBB10_28:
	s_delay_alu instid0(SALU_CYCLE_1) | instskip(NEXT) | instid1(SALU_CYCLE_1)
	s_or_b32 exec_lo, exec_lo, s4
	s_mov_b32 s0, exec_lo
	v_cmpx_lt_i64_e32 0, v[7:8]
; %bb.29:
	v_ashrrev_i32_e32 v0, 31, v16
	s_delay_alu instid0(VALU_DEP_1) | instskip(NEXT) | instid1(VALU_DEP_1)
	v_lshrrev_b32_e32 v0, 27, v0
	v_add_nc_u32_e32 v0, v16, v0
	s_delay_alu instid0(VALU_DEP_1) | instskip(NEXT) | instid1(VALU_DEP_1)
	v_ashrrev_i32_e32 v0, 5, v0
	v_sub_co_u32 v7, vcc_lo, v7, v0
; %bb.30:
	s_or_b32 exec_lo, exec_lo, s0
	v_mov_b32_e32 v0, 0
	v_mov_b32_e32 v1, 0
	s_mov_b32 s0, 0
	s_mov_b32 s4, exec_lo
                                        ; implicit-def: $vgpr8
                                        ; implicit-def: $vgpr9
	v_cmpx_ne_u64_e32 0, v[2:3]
; %bb.31:
	v_lshlrev_b32_e32 v0, 5, v7
	s_mov_b32 s0, exec_lo
	s_delay_alu instid0(VALU_DEP_1) | instskip(NEXT) | instid1(VALU_DEP_1)
	v_sub_nc_u32_e32 v8, v4, v0
	v_ashrrev_i32_e32 v0, 31, v8
	s_delay_alu instid0(VALU_DEP_1) | instskip(NEXT) | instid1(VALU_DEP_1)
	v_lshrrev_b32_e32 v0, 27, v0
	v_add_nc_u32_e32 v0, v8, v0
	s_delay_alu instid0(VALU_DEP_1)
	v_ashrrev_i32_e32 v9, 5, v0
	v_dual_mov_b32 v0, v5 :: v_dual_mov_b32 v1, v6
; %bb.32:
	s_or_b32 exec_lo, exec_lo, s4
	v_dual_mov_b32 v5, v3 :: v_dual_mov_b32 v4, v2
	s_and_b32 s0, s0, exec_lo
.LBB10_33:
	s_or_b32 exec_lo, exec_lo, s3
	s_delay_alu instid0(SALU_CYCLE_1)
	s_and_b32 exec_lo, exec_lo, s0
	s_cbranch_execz .LBB10_42
.LBB10_34:
	v_ashrrev_i32_e32 v2, 31, v5
	s_mov_b32 s0, exec_lo
	s_delay_alu instid0(VALU_DEP_1) | instskip(NEXT) | instid1(VALU_DEP_1)
	v_lshrrev_b32_e32 v2, 22, v2
	v_add_co_u32 v2, vcc_lo, v4, v2
	v_add_co_ci_u32_e32 v3, vcc_lo, 0, v5, vcc_lo
	s_delay_alu instid0(VALU_DEP_1) | instskip(SKIP_1) | instid1(VALU_DEP_2)
	v_ashrrev_i64 v[6:7], 10, v[2:3]
	v_ashrrev_i32_e32 v3, 31, v9
	v_sub_co_u32 v2, vcc_lo, v6, v9
	s_delay_alu instid0(VALU_DEP_2) | instskip(NEXT) | instid1(VALU_DEP_1)
	v_sub_co_ci_u32_e32 v3, vcc_lo, v7, v3, vcc_lo
	v_cmpx_lt_i64_e32 0, v[2:3]
	s_cbranch_execz .LBB10_38
; %bb.35:
	v_ashrrev_i32_e32 v14, 31, v8
	v_ashrrev_i32_e32 v15, 31, v16
	v_add_co_u32 v25, vcc_lo, v18, v0
	v_add_co_ci_u32_e32 v26, vcc_lo, v19, v1, vcc_lo
	s_delay_alu instid0(VALU_DEP_4) | instskip(NEXT) | instid1(VALU_DEP_4)
	v_lshrrev_b32_e32 v14, 27, v14
	v_lshrrev_b32_e32 v15, 27, v15
	s_mov_b32 s3, 0
	s_delay_alu instid0(VALU_DEP_2) | instskip(NEXT) | instid1(VALU_DEP_2)
	v_add_nc_u32_e32 v14, v8, v14
	v_add_nc_u32_e32 v15, v16, v15
	s_delay_alu instid0(VALU_DEP_2) | instskip(NEXT) | instid1(VALU_DEP_2)
	v_and_b32_e32 v17, 0xffffffe0, v14
	v_ashrrev_i32_e32 v14, 5, v15
	s_delay_alu instid0(VALU_DEP_2) | instskip(NEXT) | instid1(VALU_DEP_2)
	v_sub_nc_u32_e32 v15, v8, v17
	v_lshl_add_u32 v23, v14, 10, 0xfffffc00
	v_add_co_u32 v17, vcc_lo, v25, v12
	v_add_co_ci_u32_e32 v20, vcc_lo, v26, v13, vcc_lo
	s_delay_alu instid0(VALU_DEP_3) | instskip(SKIP_3) | instid1(VALU_DEP_4)
	v_ashrrev_i32_e32 v24, 31, v23
	v_lshl_add_u32 v15, v9, 10, v15
	v_add_co_u32 v23, vcc_lo, 0x400, v23
	v_ashrrev_i32_e32 v21, 31, v14
	v_add_co_ci_u32_e32 v24, vcc_lo, 0, v24, vcc_lo
	v_add_co_u32 v25, vcc_lo, v25, v10
	v_ashrrev_i32_e32 v22, 31, v15
	v_add_co_ci_u32_e32 v26, vcc_lo, v26, v11, vcc_lo
.LBB10_36:                              ; =>This Inner Loop Header: Depth=1
	v_add_co_u32 v27, vcc_lo, v15, v17
	s_delay_alu instid0(VALU_DEP_3)
	v_add_co_ci_u32_e32 v28, vcc_lo, v22, v20, vcc_lo
	s_clause 0x1f
	flat_load_u8 v29, v[27:28] slc dlc
	flat_load_u8 v30, v[27:28] offset:32 slc dlc
	flat_load_u8 v31, v[27:28] offset:64 slc dlc
	flat_load_u8 v32, v[27:28] offset:96 slc dlc
	flat_load_u8 v33, v[27:28] offset:128 slc dlc
	flat_load_u8 v34, v[27:28] offset:160 slc dlc
	flat_load_u8 v35, v[27:28] offset:192 slc dlc
	flat_load_u8 v36, v[27:28] offset:224 slc dlc
	flat_load_u8 v37, v[27:28] offset:256 slc dlc
	flat_load_u8 v38, v[27:28] offset:288 slc dlc
	flat_load_u8 v39, v[27:28] offset:320 slc dlc
	flat_load_u8 v48, v[27:28] offset:352 slc dlc
	flat_load_u8 v49, v[27:28] offset:384 slc dlc
	flat_load_u8 v50, v[27:28] offset:416 slc dlc
	flat_load_u8 v51, v[27:28] offset:448 slc dlc
	flat_load_u8 v52, v[27:28] offset:480 slc dlc
	flat_load_u8 v53, v[27:28] offset:512 slc dlc
	flat_load_u8 v54, v[27:28] offset:544 slc dlc
	flat_load_u8 v55, v[27:28] offset:576 slc dlc
	flat_load_u8 v64, v[27:28] offset:608 slc dlc
	flat_load_u8 v65, v[27:28] offset:640 slc dlc
	flat_load_u8 v66, v[27:28] offset:672 slc dlc
	flat_load_u8 v67, v[27:28] offset:704 slc dlc
	flat_load_u8 v68, v[27:28] offset:736 slc dlc
	flat_load_u8 v69, v[27:28] offset:768 slc dlc
	flat_load_u8 v70, v[27:28] offset:800 slc dlc
	flat_load_u8 v71, v[27:28] offset:832 slc dlc
	flat_load_u8 v80, v[27:28] offset:864 slc dlc
	flat_load_u8 v81, v[27:28] offset:896 slc dlc
	flat_load_u8 v82, v[27:28] offset:928 slc dlc
	flat_load_u8 v83, v[27:28] offset:960 slc dlc
	flat_load_u8 v84, v[27:28] offset:992 slc dlc
	v_add_co_u32 v27, vcc_lo, v15, v25
	v_add_co_ci_u32_e32 v28, vcc_lo, v22, v26, vcc_lo
	v_sub_co_u32 v2, vcc_lo, v2, v14
	v_sub_co_ci_u32_e32 v3, vcc_lo, v3, v21, vcc_lo
	v_add_co_u32 v17, vcc_lo, v17, v23
	v_add_co_ci_u32_e32 v20, vcc_lo, v20, v24, vcc_lo
	v_add_co_u32 v25, vcc_lo, v25, v23
	v_add_co_ci_u32_e32 v26, vcc_lo, v26, v24, vcc_lo
	v_cmp_gt_i64_e32 vcc_lo, 1, v[2:3]
	s_waitcnt vmcnt(31) lgkmcnt(31)
	flat_store_b8 v[27:28], v29 glc slc dlc
	s_waitcnt vmcnt(30) lgkmcnt(31)
	flat_store_b8 v[27:28], v30 offset:32 glc slc dlc
	s_waitcnt vmcnt(29) lgkmcnt(31)
	flat_store_b8 v[27:28], v31 offset:64 glc slc dlc
	;; [unrolled: 2-line block ×31, first 2 shown]
	s_or_b32 s3, vcc_lo, s3
	s_delay_alu instid0(SALU_CYCLE_1)
	s_and_not1_b32 exec_lo, exec_lo, s3
	s_cbranch_execnz .LBB10_36
; %bb.37:
	s_or_b32 exec_lo, exec_lo, s3
.LBB10_38:
	s_delay_alu instid0(SALU_CYCLE_1) | instskip(SKIP_1) | instid1(VALU_DEP_1)
	s_or_b32 exec_lo, exec_lo, s0
	v_lshlrev_b64 v[6:7], 10, v[6:7]
	v_cmp_ne_u64_e32 vcc_lo, v[4:5], v[6:7]
	s_and_b32 exec_lo, exec_lo, vcc_lo
	s_cbranch_execz .LBB10_42
; %bb.39:
	v_lshlrev_b32_e32 v3, 5, v9
	v_lshlrev_b32_e32 v2, 5, v2
	s_delay_alu instid0(VALU_DEP_2) | instskip(NEXT) | instid1(VALU_DEP_1)
	v_sub_nc_u32_e32 v3, v8, v3
	v_sub_nc_u32_e32 v8, v3, v2
	s_delay_alu instid0(VALU_DEP_1) | instskip(SKIP_1) | instid1(VALU_DEP_2)
	v_ashrrev_i32_e32 v9, 31, v8
	v_add_co_u32 v2, vcc_lo, v6, v8
	v_add_co_ci_u32_e32 v3, vcc_lo, v7, v9, vcc_lo
	s_delay_alu instid0(VALU_DEP_2) | instskip(NEXT) | instid1(VALU_DEP_2)
	v_sub_co_u32 v2, vcc_lo, v4, v2
	v_sub_co_ci_u32_e32 v3, vcc_lo, v5, v3, vcc_lo
	s_delay_alu instid0(VALU_DEP_1)
	v_cmp_lt_i64_e32 vcc_lo, 0, v[2:3]
	s_and_b32 exec_lo, exec_lo, vcc_lo
	s_cbranch_execz .LBB10_42
; %bb.40:
	v_ashrrev_i32_e32 v4, 31, v16
	v_add_co_u32 v0, vcc_lo, v18, v0
	v_add_co_ci_u32_e32 v1, vcc_lo, v19, v1, vcc_lo
	s_delay_alu instid0(VALU_DEP_3) | instskip(NEXT) | instid1(VALU_DEP_3)
	v_lshrrev_b32_e32 v4, 27, v4
	v_add_co_u32 v6, vcc_lo, v0, v6
	s_delay_alu instid0(VALU_DEP_3) | instskip(NEXT) | instid1(VALU_DEP_3)
	v_add_co_ci_u32_e32 v7, vcc_lo, v1, v7, vcc_lo
	v_add_nc_u32_e32 v4, v16, v4
	s_mov_b32 s3, 0
	s_delay_alu instid0(VALU_DEP_1) | instskip(NEXT) | instid1(VALU_DEP_1)
	v_and_b32_e32 v4, 0xffffffe0, v4
	v_subrev_nc_u32_e32 v5, 32, v4
	v_ashrrev_i32_e32 v0, 31, v4
	s_delay_alu instid0(VALU_DEP_2) | instskip(SKIP_1) | instid1(VALU_DEP_2)
	v_ashrrev_i32_e32 v14, 31, v5
	v_add_co_u32 v1, vcc_lo, v5, 32
	v_add_co_ci_u32_e32 v5, vcc_lo, 0, v14, vcc_lo
	v_add_co_u32 v6, vcc_lo, v6, v8
	v_add_co_ci_u32_e32 v7, vcc_lo, v7, v9, vcc_lo
	.p2align	6
.LBB10_41:                              ; =>This Inner Loop Header: Depth=1
	s_delay_alu instid0(VALU_DEP_2) | instskip(NEXT) | instid1(VALU_DEP_2)
	v_add_co_u32 v8, vcc_lo, v12, v6
	v_add_co_ci_u32_e32 v9, vcc_lo, v13, v7, vcc_lo
	v_sub_co_u32 v2, vcc_lo, v2, v4
	v_sub_co_ci_u32_e32 v3, vcc_lo, v3, v0, vcc_lo
	flat_load_u8 v14, v[8:9] slc dlc
	v_add_co_u32 v8, vcc_lo, v10, v6
	v_add_co_ci_u32_e32 v9, vcc_lo, v11, v7, vcc_lo
	v_cmp_gt_i64_e32 vcc_lo, 1, v[2:3]
	v_add_co_u32 v6, s0, v6, v1
	s_delay_alu instid0(VALU_DEP_1)
	v_add_co_ci_u32_e64 v7, s0, v7, v5, s0
	s_or_b32 s3, vcc_lo, s3
	s_waitcnt vmcnt(0) lgkmcnt(0)
	flat_store_b8 v[8:9], v14 glc slc dlc
	s_and_not1_b32 exec_lo, exec_lo, s3
	s_cbranch_execnz .LBB10_41
.LBB10_42:
	s_or_b32 exec_lo, exec_lo, s2
                                        ; implicit-def: $vgpr16_vgpr17
                                        ; implicit-def: $vgpr14_vgpr15
                                        ; implicit-def: $vgpr18_vgpr19
                                        ; implicit-def: $vgpr4_vgpr5
                                        ; implicit-def: $vgpr2
                                        ; implicit-def: $vgpr0
                                        ; implicit-def: $vgpr31
                                        ; implicit-def: $vgpr12_vgpr13
                                        ; implicit-def: $vgpr8_vgpr9
                                        ; implicit-def: $vgpr17
.LBB10_43:
	s_and_not1_saveexec_b32 s11, s1
	s_cbranch_execz .LBB10_462
; %bb.44:
	s_load_b32 s0, s[8:9], 0x0
	v_mov_b32_e32 v1, 0
	s_mov_b32 s2, 0
	s_waitcnt lgkmcnt(0)
	s_cmp_lt_u32 s12, s0
	s_cselect_b32 s0, 12, 18
	s_delay_alu instid0(SALU_CYCLE_1)
	s_add_u32 s0, s8, s0
	s_addc_u32 s1, s9, 0
	global_load_u16 v3, v1, s[0:1]
	s_cbranch_execnz .LBB10_50
; %bb.45:
	ds_load_b32 v6, v0
	v_ashrrev_i32_e32 v1, 31, v0
	s_delay_alu instid0(VALU_DEP_1) | instskip(NEXT) | instid1(VALU_DEP_1)
	v_lshrrev_b32_e32 v7, 27, v1
	v_add_nc_u32_e32 v20, v0, v7
	v_lshrrev_b64 v[7:8], 31, v[8:9]
	s_delay_alu instid0(VALU_DEP_2) | instskip(NEXT) | instid1(VALU_DEP_2)
	v_and_b32_e32 v8, 0xffffffe0, v20
	v_and_b32_e32 v9, 3, v7
	s_waitcnt lgkmcnt(0)
	v_cmp_gt_i32_e32 vcc_lo, 0, v6
	s_delay_alu instid0(VALU_DEP_3)
	v_sub_nc_u32_e32 v8, v0, v8
	v_readfirstlane_b32 s1, v6
	s_cbranch_vccnz .LBB10_52
; %bb.46:
	s_delay_alu instid0(VALU_DEP_2)
	v_cmp_eq_u32_e32 vcc_lo, 0, v8
	s_cbranch_execnz .LBB10_56
; %bb.47:
	ds_load_b64 v[20:21], v0
	v_dual_mov_b32 v7, 0 :: v_dual_and_b32 v22, 0xffff, v9
	s_mov_b32 s2, 1
	s_delay_alu instid0(VALU_DEP_1) | instskip(SKIP_1) | instid1(VALU_DEP_1)
	v_lshlrev_b64 v[6:7], 3, v[6:7]
	s_waitcnt lgkmcnt(0)
	v_add_co_u32 v6, s0, v20, v6
	s_delay_alu instid0(VALU_DEP_1)
	v_add_co_ci_u32_e64 v7, s0, v21, v7, s0
	flat_load_b64 v[6:7], v[6:7]
	s_waitcnt vmcnt(0) lgkmcnt(0)
	v_mad_u64_u32 v[20:21], null, 0xa8, v22, v[6:7]
	s_clause 0x1
	flat_load_b64 v[22:23], v[20:21] offset:504
	flat_load_b64 v[24:25], v[20:21] offset:608
	v_add_co_u32 v6, s0, 0x1f8, v20
	s_delay_alu instid0(VALU_DEP_1) | instskip(NEXT) | instid1(VALU_DEP_1)
	v_add_co_ci_u32_e64 v7, s0, 0, v21, s0
	v_dual_cndmask_b32 v20, 0, v6 :: v_dual_cndmask_b32 v21, 0, v7
	s_cbranch_execz .LBB10_53
.LBB10_48:
	s_trap 2
	s_sendmsg_rtn_b32 s0, sendmsg(MSG_RTN_GET_DOORBELL)
	s_mov_b32 ttmp2, m0
	s_waitcnt lgkmcnt(0)
	s_and_b32 s0, s0, 0x3ff
	s_delay_alu instid0(SALU_CYCLE_1) | instskip(NEXT) | instid1(SALU_CYCLE_1)
	s_bitset1_b32 s0, 10
	s_mov_b32 m0, s0
	s_sendmsg sendmsg(MSG_INTERRUPT)
	s_mov_b32 m0, ttmp2
.LBB10_49:                              ; =>This Inner Loop Header: Depth=1
	s_sethalt 5
	s_branch .LBB10_49
.LBB10_50:
	s_trap 2
	s_sendmsg_rtn_b32 s0, sendmsg(MSG_RTN_GET_DOORBELL)
	s_mov_b32 ttmp2, m0
	s_waitcnt lgkmcnt(0)
	s_and_b32 s0, s0, 0x3ff
	s_delay_alu instid0(SALU_CYCLE_1) | instskip(NEXT) | instid1(SALU_CYCLE_1)
	s_bitset1_b32 s0, 10
	s_mov_b32 m0, s0
	s_sendmsg sendmsg(MSG_INTERRUPT)
	s_mov_b32 m0, ttmp2
.LBB10_51:                              ; =>This Inner Loop Header: Depth=1
	s_sethalt 5
	s_branch .LBB10_51
.LBB10_52:
	v_mov_b32_e32 v20, 0
	v_mov_b32_e32 v21, 0
                                        ; implicit-def: $vgpr24_vgpr25
                                        ; implicit-def: $vgpr22_vgpr23
	s_cbranch_execnz .LBB10_48
.LBB10_53:
	ds_load_b32 v6, v0
	v_mov_b32_e32 v28, 0
	v_mov_b32_e32 v29, 0
	s_waitcnt lgkmcnt(0)
	v_cmp_gt_i32_e32 vcc_lo, 0, v6
	s_cbranch_vccnz .LBB10_58
; %bb.54:
	s_cbranch_execnz .LBB10_65
; %bb.55:
	ds_load_b64 v[26:27], v0
	v_mov_b32_e32 v7, 0
	v_and_b32_e32 v9, 0xffff, v9
	s_delay_alu instid0(VALU_DEP_2) | instskip(SKIP_1) | instid1(VALU_DEP_1)
	v_lshlrev_b64 v[6:7], 3, v[6:7]
	s_waitcnt lgkmcnt(0)
	v_add_co_u32 v6, vcc_lo, v26, v6
	s_delay_alu instid0(VALU_DEP_2)
	v_add_co_ci_u32_e32 v7, vcc_lo, v27, v7, vcc_lo
	v_cmp_eq_u32_e32 vcc_lo, 0, v8
	flat_load_b64 v[6:7], v[6:7]
	s_waitcnt vmcnt(0) lgkmcnt(0)
	v_mad_u64_u32 v[26:27], null, 0xa8, v9, v[6:7]
	s_clause 0x1
	flat_load_b64 v[32:33], v[26:27]
	flat_load_b64 v[34:35], v[26:27] offset:104
	v_dual_cndmask_b32 v26, 0, v26 :: v_dual_cndmask_b32 v27, 0, v27
	s_branch .LBB10_59
.LBB10_56:
	s_trap 2
	s_sendmsg_rtn_b32 s0, sendmsg(MSG_RTN_GET_DOORBELL)
	s_mov_b32 ttmp2, m0
	s_waitcnt lgkmcnt(0)
	s_and_b32 s0, s0, 0x3ff
	s_delay_alu instid0(SALU_CYCLE_1) | instskip(NEXT) | instid1(SALU_CYCLE_1)
	s_bitset1_b32 s0, 10
	s_mov_b32 m0, s0
	s_sendmsg sendmsg(MSG_INTERRUPT)
	s_mov_b32 m0, ttmp2
.LBB10_57:                              ; =>This Inner Loop Header: Depth=1
	s_sethalt 5
	s_branch .LBB10_57
.LBB10_58:
	s_delay_alu instid0(VALU_DEP_2)
	v_dual_mov_b32 v26, v28 :: v_dual_mov_b32 v27, v29
                                        ; implicit-def: $vgpr34_vgpr35
                                        ; implicit-def: $vgpr32_vgpr33
.LBB10_59:
	v_subrev_nc_u32_e32 v6, 32, v2
	v_cmp_gt_i32_e64 s0, s2, v8
                                        ; implicit-def: $vgpr36_vgpr37
	s_delay_alu instid0(VALU_DEP_2) | instskip(NEXT) | instid1(VALU_DEP_2)
	v_cmp_le_i32_e32 vcc_lo, v6, v0
	s_and_b32 s12, vcc_lo, s0
	s_delay_alu instid0(SALU_CYCLE_1)
	s_and_saveexec_b32 s0, s12
; %bb.60:
	s_clause 0x1
	flat_load_b64 v[28:29], v[20:21] offset:56
	flat_load_b64 v[36:37], v[20:21] offset:104
; %bb.61:
	s_or_b32 exec_lo, exec_lo, s0
	v_mov_b32_e32 v50, 0
	v_mov_b32_e32 v51, 0
	v_cmp_gt_i32_e64 s0, s2, v0
	s_delay_alu instid0(VALU_DEP_3) | instskip(SKIP_1) | instid1(VALU_DEP_4)
	v_mov_b32_e32 v6, v50
	v_mov_b32_e32 v38, v50
                                        ; implicit-def: $vgpr48_vgpr49
	v_mov_b32_e32 v39, v51
	v_mov_b32_e32 v7, v51
	s_and_saveexec_b32 s2, s0
	s_cbranch_execz .LBB10_63
; %bb.62:
	flat_load_b64 v[38:39], v[26:27] offset:56
	s_waitcnt vmcnt(0) lgkmcnt(0)
	flat_load_b64 v[48:49], v[38:39] glc dlc
	s_waitcnt vmcnt(0)
	flat_load_b128 v[6:9], v[26:27] offset:96
.LBB10_63:
	s_or_b32 exec_lo, exec_lo, s2
	s_waitcnt vmcnt(0)
	v_and_b32_e32 v30, 0xffff, v3
	s_mov_b32 s13, exec_lo
	v_cmpx_ne_u64_e32 0, v[4:5]
	s_cbranch_execz .LBB10_372
; %bb.64:
	v_cvt_f64_u32_e32 v[50:51], 0
	v_dual_mov_b32 v80, 0 :: v_dual_lshlrev_b32 v3, 4, v16
	v_dual_mov_b32 v119, 0 :: v_dual_lshlrev_b32 v100, 3, v0
	s_ashr_i32 s2, s1, 31
	s_delay_alu instid0(VALU_DEP_2) | instskip(SKIP_1) | instid1(VALU_DEP_3)
	v_and_b32_e32 v98, 0x1fffff0, v3
	v_ashrrev_i32_e32 v3, 31, v2
	v_ashrrev_i32_e32 v103, 31, v100
	v_add_co_u32 v112, vcc_lo, v10, v100
	s_delay_alu instid0(VALU_DEP_4) | instskip(SKIP_1) | instid1(VALU_DEP_3)
	v_cvt_f64_u32_e32 v[52:53], v98
	s_lshr_b32 s2, s2, 29
	v_add_co_ci_u32_e32 v113, vcc_lo, v11, v103, vcc_lo
	v_add_co_u32 v64, vcc_lo, v18, v12
	v_cmp_ne_u64_e64 s9, v[12:13], v[10:11]
	v_and_b32_e32 v12, 0x1fffff, v16
	s_add_i32 s1, s1, s2
	v_add_co_ci_u32_e32 v65, vcc_lo, v19, v13, vcc_lo
	s_ashr_i32 s14, s1, 7
	v_cmp_ne_u32_e64 s1, v14, v17
	v_add_co_u32 v66, vcc_lo, v64, v100
	v_lshlrev_b32_e32 v115, 7, v12
	v_lshlrev_b64 v[12:13], 4, v[0:1]
	v_add_co_ci_u32_e32 v67, vcc_lo, v65, v103, vcc_lo
	v_cmp_ne_u32_e64 s2, v15, v17
	v_dual_mov_b32 v118, 1 :: v_dual_and_b32 v15, 31, v31
	v_add_co_u32 v70, vcc_lo, v10, v18
	v_add_co_ci_u32_e32 v71, vcc_lo, v11, v19, vcc_lo
	s_waitcnt lgkmcnt(1)
	v_add_co_u32 v1, vcc_lo, v32, v12
	v_ldexp_f64 v[50:51], v[50:51], 32
	v_cmp_ne_u64_e64 s3, 0, v[38:39]
	s_waitcnt lgkmcnt(0)
	v_cmp_ne_u64_e64 s4, 0, v[6:7]
	v_cmp_ne_u64_e64 s8, 0, v[28:29]
	v_lshlrev_b64 v[68:69], 4, v[2:3]
	v_cmp_ne_u32_e64 s5, 32, v2
	v_cmp_ne_u32_e64 s6, v2, v30
	v_cmp_eq_u32_e64 s7, 0, v15
	v_lshlrev_b32_e32 v116, 6, v2
	v_add_co_ci_u32_e32 v117, vcc_lo, v33, v13, vcc_lo
	s_xor_b32 s10, s10, -1
	s_mov_b32 s15, 0
	s_and_b32 s16, s10, s9
	v_dual_mov_b32 v81, 0 :: v_dual_lshlrev_b32 v102, 3, v2
	v_add_f64 v[50:51], v[50:51], v[52:53]
	v_lshrrev_b32_e32 v52, 27, v3
	v_lshlrev_b32_e32 v3, 3, v66
	s_delay_alu instid0(VALU_DEP_2) | instskip(NEXT) | instid1(VALU_DEP_1)
	v_dual_mov_b32 v53, 0 :: v_dual_add_nc_u32 v14, v2, v52
	v_ashrrev_i32_e32 v99, 5, v14
	s_delay_alu instid0(VALU_DEP_1)
	v_ashrrev_i32_e32 v101, 31, v99
	v_max_f64 v[54:55], v[50:51], v[50:51]
	v_dual_mov_b32 v50, v80 :: v_dual_mov_b32 v51, v81
	v_ashrrev_i32_e32 v114, 31, v102
	s_branch .LBB10_70
.LBB10_65:
	s_trap 2
	s_sendmsg_rtn_b32 s0, sendmsg(MSG_RTN_GET_DOORBELL)
	s_mov_b32 ttmp2, m0
	s_waitcnt lgkmcnt(0)
	s_and_b32 s0, s0, 0x3ff
	s_delay_alu instid0(SALU_CYCLE_1) | instskip(NEXT) | instid1(SALU_CYCLE_1)
	s_bitset1_b32 s0, 10
	s_mov_b32 m0, s0
	s_sendmsg sendmsg(MSG_INTERRUPT)
	s_mov_b32 m0, ttmp2
.LBB10_66:                              ; =>This Inner Loop Header: Depth=1
	s_sethalt 5
	s_branch .LBB10_66
.LBB10_67:                              ;   in Loop: Header=BB10_70 Depth=1
	s_or_b32 exec_lo, exec_lo, s18
	v_add_co_u32 v34, vcc_lo, v34, 1
	v_add_co_ci_u32_e32 v35, vcc_lo, 0, v35, vcc_lo
.LBB10_68:                              ;   in Loop: Header=BB10_70 Depth=1
	s_or_b32 exec_lo, exec_lo, s10
.LBB10_69:                              ;   in Loop: Header=BB10_70 Depth=1
	s_delay_alu instid0(SALU_CYCLE_1)
	s_or_b32 exec_lo, exec_lo, s17
	v_add_co_u32 v80, vcc_lo, v80, v98
	v_add_co_ci_u32_e32 v81, vcc_lo, 0, v81, vcc_lo
	v_add_co_u32 v64, vcc_lo, v64, v98
	v_add_co_ci_u32_e32 v65, vcc_lo, 0, v65, vcc_lo
	;; [unrolled: 2-line block ×3, first 2 shown]
	v_cmp_ge_u64_e32 vcc_lo, v[80:81], v[4:5]
	v_add_co_u32 v66, s9, v66, v98
	v_add_nc_u32_e32 v3, v3, v115
	v_add_co_ci_u32_e64 v67, s9, 0, v67, s9
	s_or_b32 s15, vcc_lo, s15
	s_delay_alu instid0(SALU_CYCLE_1)
	s_and_not1_b32 exec_lo, exec_lo, s15
	s_cbranch_execz .LBB10_371
.LBB10_70:                              ; =>This Loop Header: Depth=1
                                        ;     Child Loop BB10_79 Depth 2
                                        ;     Child Loop BB10_99 Depth 2
	;; [unrolled: 1-line block ×3, first 2 shown]
                                        ;       Child Loop BB10_119 Depth 3
                                        ;     Child Loop BB10_161 Depth 2
                                        ;     Child Loop BB10_178 Depth 2
	;; [unrolled: 1-line block ×3, first 2 shown]
                                        ;       Child Loop BB10_188 Depth 3
                                        ;     Child Loop BB10_226 Depth 2
                                        ;     Child Loop BB10_252 Depth 2
	;; [unrolled: 1-line block ×9, first 2 shown]
	v_sub_co_u32 v12, vcc_lo, v4, v80
	v_sub_co_ci_u32_e32 v10, vcc_lo, v5, v81, vcc_lo
	s_delay_alu instid0(VALU_DEP_2) | instskip(NEXT) | instid1(VALU_DEP_2)
	v_cvt_f64_u32_e32 v[12:13], v12
	v_cvt_f64_u32_e32 v[10:11], v10
	s_delay_alu instid0(VALU_DEP_1) | instskip(NEXT) | instid1(VALU_DEP_1)
	v_ldexp_f64 v[10:11], v[10:11], 32
	v_add_f64 v[10:11], v[10:11], v[12:13]
	s_delay_alu instid0(VALU_DEP_1) | instskip(NEXT) | instid1(VALU_DEP_1)
	v_min_f64 v[10:11], v[54:55], v[10:11]
	v_cvt_i32_f64_e32 v10, v[10:11]
	s_delay_alu instid0(VALU_DEP_1) | instskip(SKIP_1) | instid1(SALU_CYCLE_1)
	v_max_i32_e32 v12, 0, v10
	s_and_saveexec_b32 s9, s1
	s_xor_b32 s17, exec_lo, s9
	s_cbranch_execz .LBB10_243
; %bb.71:                               ;   in Loop: Header=BB10_70 Depth=1
	v_add_co_u32 v13, vcc_lo, v80, v18
	v_add_co_ci_u32_e32 v15, vcc_lo, v81, v19, vcc_lo
	s_and_saveexec_b32 s9, s2
	s_delay_alu instid0(SALU_CYCLE_1)
	s_xor_b32 s18, exec_lo, s9
	s_cbranch_execz .LBB10_180
; %bb.72:                               ;   in Loop: Header=BB10_70 Depth=1
	s_and_saveexec_b32 s9, s3
	s_cbranch_execz .LBB10_90
; %bb.73:                               ;   in Loop: Header=BB10_70 Depth=1
	v_add_co_u32 v10, vcc_lo, v8, 1
	v_add_co_ci_u32_e32 v11, vcc_lo, 0, v9, vcc_lo
	s_waitcnt vmcnt(0) lgkmcnt(0)
	v_add_co_u32 v16, vcc_lo, v48, 8
	v_add_co_ci_u32_e32 v17, vcc_lo, 0, v49, vcc_lo
	s_mov_b32 s10, exec_lo
	s_delay_alu instid0(VALU_DEP_1)
	v_cmpx_lt_u64_e64 v[16:17], v[10:11]
	s_cbranch_execz .LBB10_87
; %bb.74:                               ;   in Loop: Header=BB10_70 Depth=1
	s_sleep 1
	flat_load_b64 v[48:49], v[38:39] glc
	v_cmp_eq_u32_e32 vcc_lo, 0, v119
	s_and_saveexec_b32 s19, vcc_lo
	s_cbranch_execz .LBB10_86
; %bb.75:                               ;   in Loop: Header=BB10_70 Depth=1
	v_cndmask_b32_e64 v9, 0, 1, vcc_lo
	s_mov_b32 s20, 0
                                        ; implicit-def: $sgpr21
	s_branch .LBB10_79
.LBB10_76:                              ;   in Loop: Header=BB10_79 Depth=2
	s_or_b32 exec_lo, exec_lo, s24
	s_delay_alu instid0(SALU_CYCLE_1)
	s_or_not1_b32 s24, s25, exec_lo
.LBB10_77:                              ;   in Loop: Header=BB10_79 Depth=2
	s_or_b32 exec_lo, exec_lo, s23
	s_xor_b32 s23, s24, -1
	s_and_not1_b32 s21, s21, exec_lo
	s_and_b32 s23, s23, exec_lo
	s_delay_alu instid0(SALU_CYCLE_1)
	s_or_b32 s21, s21, s23
.LBB10_78:                              ;   in Loop: Header=BB10_79 Depth=2
	s_or_b32 exec_lo, exec_lo, s22
	s_delay_alu instid0(SALU_CYCLE_1) | instskip(NEXT) | instid1(SALU_CYCLE_1)
	s_and_b32 s22, exec_lo, s21
	s_or_b32 s20, s22, s20
	s_delay_alu instid0(SALU_CYCLE_1)
	s_and_not1_b32 exec_lo, exec_lo, s20
	s_cbranch_execz .LBB10_85
.LBB10_79:                              ;   Parent Loop BB10_70 Depth=1
                                        ; =>  This Inner Loop Header: Depth=2
	s_waitcnt vmcnt(0) lgkmcnt(0)
	v_add_co_u32 v16, vcc_lo, v48, 8
	v_add_co_ci_u32_e32 v17, vcc_lo, 0, v49, vcc_lo
	v_mov_b32_e32 v119, 0
	s_or_b32 s21, s21, exec_lo
	s_mov_b32 s22, exec_lo
	s_delay_alu instid0(VALU_DEP_2)
	v_cmpx_lt_u64_e64 v[16:17], v[10:11]
	s_cbranch_execz .LBB10_78
; %bb.80:                               ;   in Loop: Header=BB10_79 Depth=2
	s_sleep 1
	flat_load_b64 v[48:49], v[38:39] glc
	v_add_nc_u32_e32 v9, 1, v9
	v_mov_b32_e32 v119, 0
	s_mov_b32 s24, -1
	s_mov_b32 s23, exec_lo
	s_delay_alu instid0(VALU_DEP_2)
	v_cmpx_eq_u32_e32 0x2710, v9
	s_cbranch_execz .LBB10_77
; %bb.81:                               ;   in Loop: Header=BB10_79 Depth=2
	s_cbranch_execnz .LBB10_384
; %bb.82:                               ;   in Loop: Header=BB10_79 Depth=2
	ds_load_b64 v[16:17], v0
	v_mov_b32_e32 v9, 0
	v_mov_b32_e32 v119, 0
	s_mov_b32 s25, -1
	s_mov_b32 s24, exec_lo
	s_waitcnt vmcnt(0) lgkmcnt(0)
	s_waitcnt_vscnt null, 0x0
	flat_load_b32 v14, v[16:17] glc
	s_waitcnt vmcnt(0) lgkmcnt(0)
	buffer_gl1_inv
	buffer_gl0_inv
	v_cmpx_ne_u32_e32 0, v14
	s_cbranch_execz .LBB10_76
; %bb.83:                               ;   in Loop: Header=BB10_79 Depth=2
	ds_store_b32 v0, v14
	s_cbranch_execnz .LBB10_413
; %bb.84:                               ;   in Loop: Header=BB10_79 Depth=2
	v_mov_b32_e32 v119, 1
	s_xor_b32 s25, exec_lo, -1
	s_branch .LBB10_76
.LBB10_85:                              ;   in Loop: Header=BB10_70 Depth=1
	s_or_b32 exec_lo, exec_lo, s20
.LBB10_86:                              ;   in Loop: Header=BB10_70 Depth=1
	s_delay_alu instid0(SALU_CYCLE_1)
	s_or_b32 exec_lo, exec_lo, s19
.LBB10_87:                              ;   in Loop: Header=BB10_70 Depth=1
	s_delay_alu instid0(SALU_CYCLE_1)
	s_or_b32 exec_lo, exec_lo, s10
	s_and_saveexec_b32 s10, s4
	s_cbranch_execz .LBB10_89
; %bb.88:                               ;   in Loop: Header=BB10_70 Depth=1
	v_add_nc_u32_e32 v9, 7, v12
	v_and_b32_e32 v52, 0x7ffffff8, v8
	s_delay_alu instid0(VALU_DEP_2) | instskip(NEXT) | instid1(VALU_DEP_2)
	v_ashrrev_i32_e32 v14, 31, v9
	v_cmp_eq_u64_e32 vcc_lo, 0x7ffffff8, v[52:53]
	s_delay_alu instid0(VALU_DEP_2) | instskip(NEXT) | instid1(VALU_DEP_1)
	v_lshrrev_b32_e32 v14, 29, v14
	v_add_nc_u32_e32 v9, v9, v14
	v_and_b32_e32 v14, 7, v8
	s_delay_alu instid0(VALU_DEP_2) | instskip(NEXT) | instid1(VALU_DEP_2)
	v_lshrrev_b32_e32 v9, 3, v9
	v_mad_u64_u32 v[16:17], null, v14, 24, v[6:7]
	s_delay_alu instid0(VALU_DEP_2) | instskip(NEXT) | instid1(VALU_DEP_1)
	v_cndmask_b32_e64 v9, v9, s14, vcc_lo
	v_lshlrev_b32_e32 v8, 4, v9
	s_delay_alu instid0(VALU_DEP_1)
	v_ashrrev_i32_e32 v9, 31, v8
	flat_store_b64 v[16:17], v[8:9] offset:8 dlc
	s_waitcnt_vscnt null, 0x0
.LBB10_89:                              ;   in Loop: Header=BB10_70 Depth=1
	s_or_b32 exec_lo, exec_lo, s10
	v_dual_mov_b32 v8, v10 :: v_dual_mov_b32 v9, v11
.LBB10_90:                              ;   in Loop: Header=BB10_70 Depth=1
	s_or_b32 exec_lo, exec_lo, s9
	s_and_saveexec_b32 s9, s5
	s_cbranch_execz .LBB10_112
; %bb.91:                               ;   in Loop: Header=BB10_70 Depth=1
	s_and_saveexec_b32 s10, s6
	s_delay_alu instid0(SALU_CYCLE_1)
	s_xor_b32 s10, exec_lo, s10
	s_cbranch_execz .LBB10_109
; %bb.92:                               ;   in Loop: Header=BB10_70 Depth=1
	s_and_saveexec_b32 s19, s7
	s_cbranch_execz .LBB10_108
; %bb.93:                               ;   in Loop: Header=BB10_70 Depth=1
	s_mov_b32 s21, exec_lo
	s_mov_b32 s20, exec_lo
	v_mbcnt_lo_u32_b32 v10, s21, 0
	s_waitcnt vmcnt(0) lgkmcnt(0)
	s_waitcnt_vscnt null, 0x0
	buffer_gl1_inv
	buffer_gl0_inv
	v_cmpx_eq_u32_e32 0, v10
	s_cbranch_execz .LBB10_95
; %bb.94:                               ;   in Loop: Header=BB10_70 Depth=1
	s_bcnt1_i32_b32 s21, s21
	s_delay_alu instid0(SALU_CYCLE_1)
	v_mov_b32_e32 v52, s21
	ds_add_u64 v0, v[52:53]
	s_cbranch_execnz .LBB10_411
.LBB10_95:                              ;   in Loop: Header=BB10_70 Depth=1
	s_or_b32 exec_lo, exec_lo, s20
	s_cbranch_execnz .LBB10_405
; %bb.96:                               ;   in Loop: Header=BB10_70 Depth=1
	ds_load_b64 v[10:11], v0
	v_add_co_u32 v50, vcc_lo, v50, v99
	v_add_co_ci_u32_e32 v51, vcc_lo, v51, v101, vcc_lo
	s_mov_b32 s20, exec_lo
	s_waitcnt lgkmcnt(0)
	s_delay_alu instid0(VALU_DEP_1)
	v_cmpx_lt_u64_e64 v[10:11], v[50:51]
	s_cbranch_execz .LBB10_107
; %bb.97:                               ;   in Loop: Header=BB10_70 Depth=1
	s_mov_b32 s21, 0
	s_mov_b32 s24, 0
                                        ; implicit-def: $sgpr22
                                        ; implicit-def: $sgpr23
	s_branch .LBB10_99
.LBB10_98:                              ;   in Loop: Header=BB10_99 Depth=2
	s_or_b32 exec_lo, exec_lo, s27
	s_delay_alu instid0(SALU_CYCLE_1) | instskip(NEXT) | instid1(SALU_CYCLE_1)
	s_and_b32 s25, exec_lo, s26
	s_or_b32 s21, s25, s21
	s_and_not1_b32 s22, s22, exec_lo
	s_and_b32 s25, s23, exec_lo
	s_delay_alu instid0(SALU_CYCLE_1)
	s_or_b32 s22, s22, s25
	s_and_not1_b32 exec_lo, exec_lo, s21
	s_cbranch_execz .LBB10_105
.LBB10_99:                              ;   Parent Loop BB10_70 Depth=1
                                        ; =>  This Inner Loop Header: Depth=2
	s_add_i32 s24, s24, 1
                                        ; implicit-def: $sgpr26
	s_delay_alu instid0(SALU_CYCLE_1) | instskip(SKIP_1) | instid1(SALU_CYCLE_1)
	s_cmpk_lg_i32 s24, 0x2710
	s_cselect_b32 s25, -1, 0
	s_and_b32 vcc_lo, exec_lo, s25
	s_cbranch_vccz .LBB10_103
.LBB10_100:                             ;   in Loop: Header=BB10_99 Depth=2
	s_and_not1_b32 s23, s23, exec_lo
	s_and_b32 s27, s26, exec_lo
	s_mov_b32 s26, -1
	s_or_b32 s23, s23, s27
	s_and_saveexec_b32 s27, s25
	s_cbranch_execz .LBB10_98
; %bb.101:                              ;   in Loop: Header=BB10_99 Depth=2
	s_sleep 1
	s_cbranch_execnz .LBB10_435
; %bb.102:                              ;   in Loop: Header=BB10_99 Depth=2
	ds_load_b64 v[10:11], v0
	s_and_not1_b32 s23, s23, exec_lo
	s_waitcnt lgkmcnt(0)
	v_cmp_ge_u64_e32 vcc_lo, v[10:11], v[50:51]
	s_or_not1_b32 s26, vcc_lo, exec_lo
	s_branch .LBB10_98
.LBB10_103:                             ;   in Loop: Header=BB10_99 Depth=2
	s_cbranch_execnz .LBB10_437
; %bb.104:                              ;   in Loop: Header=BB10_99 Depth=2
	ds_load_b64 v[10:11], v0
	s_and_not1_b32 s25, s25, exec_lo
	s_mov_b32 s24, 0
	s_mov_b32 s26, -1
	s_waitcnt lgkmcnt(0)
	flat_load_b32 v10, v[10:11] glc
	s_waitcnt vmcnt(0) lgkmcnt(0)
	buffer_gl1_inv
	buffer_gl0_inv
	v_cmp_eq_u32_e32 vcc_lo, 0, v10
	s_and_b32 s27, vcc_lo, exec_lo
	s_delay_alu instid0(SALU_CYCLE_1)
	s_or_b32 s25, s25, s27
	s_branch .LBB10_100
.LBB10_105:                             ;   in Loop: Header=BB10_70 Depth=1
	s_or_b32 exec_lo, exec_lo, s21
	s_and_saveexec_b32 s21, s22
	s_delay_alu instid0(SALU_CYCLE_1)
	s_xor_b32 s21, exec_lo, s21
	s_cbranch_execz .LBB10_107
; %bb.106:                              ;   in Loop: Header=BB10_70 Depth=1
	ds_store_b32 v0, v118
	s_cbranch_execnz .LBB10_465
.LBB10_107:                             ;   in Loop: Header=BB10_70 Depth=1
	s_or_b32 exec_lo, exec_lo, s20
	;;#ASMSTART
	s_wakeup
	;;#ASMEND
.LBB10_108:                             ;   in Loop: Header=BB10_70 Depth=1
	s_or_b32 exec_lo, exec_lo, s19
.LBB10_109:                             ;   in Loop: Header=BB10_70 Depth=1
	s_and_not1_saveexec_b32 s10, s10
	s_cbranch_execz .LBB10_111
; %bb.110:                              ;   in Loop: Header=BB10_70 Depth=1
	s_waitcnt vmcnt(0) lgkmcnt(0)
	s_waitcnt_vscnt null, 0x0
	buffer_gl1_inv
	buffer_gl0_inv
	s_barrier
.LBB10_111:                             ;   in Loop: Header=BB10_70 Depth=1
	s_or_b32 exec_lo, exec_lo, s10
.LBB10_112:                             ;   in Loop: Header=BB10_70 Depth=1
	s_delay_alu instid0(SALU_CYCLE_1) | instskip(SKIP_3) | instid1(VALU_DEP_2)
	s_or_b32 exec_lo, exec_lo, s9
	v_sub_nc_u32_e32 v52, v12, v100
	v_mov_b32_e32 v82, v0
	s_mov_b32 s19, exec_lo
	v_cmpx_lt_i32_e32 0, v52
	s_cbranch_execz .LBB10_152
; %bb.113:                              ;   in Loop: Header=BB10_70 Depth=1
	v_and_b32_e32 v10, 7, v24
	v_dual_mov_b32 v14, v34 :: v_dual_and_b32 v11, 7, v34
	v_add_co_u32 v84, vcc_lo, v112, v13
	s_delay_alu instid0(VALU_DEP_3) | instskip(NEXT) | instid1(VALU_DEP_3)
	v_mul_lo_u32 v10, v10, s14
	v_mul_lo_u32 v16, v11, s14
	v_add_co_ci_u32_e32 v85, vcc_lo, v113, v15, vcc_lo
	v_add_nc_u32_e32 v128, 1, v24
	v_mov_b32_e32 v82, v0
	s_mov_b32 s20, 0
	v_ashrrev_i32_e32 v11, 31, v10
	v_ashrrev_i32_e32 v17, 31, v16
	s_delay_alu instid0(VALU_DEP_2) | instskip(NEXT) | instid1(VALU_DEP_2)
	v_lshlrev_b64 v[10:11], 4, v[10:11]
	v_lshlrev_b64 v[12:13], 4, v[16:17]
	s_delay_alu instid0(VALU_DEP_2) | instskip(NEXT) | instid1(VALU_DEP_3)
	v_add_co_u32 v129, vcc_lo, v22, v10
	v_add_co_ci_u32_e32 v130, vcc_lo, v23, v11, vcc_lo
	s_delay_alu instid0(VALU_DEP_3) | instskip(NEXT) | instid1(VALU_DEP_4)
	v_add_co_u32 v131, vcc_lo, v32, v12
	v_add_co_ci_u32_e32 v132, vcc_lo, v33, v13, vcc_lo
	v_add_co_u32 v133, vcc_lo, 0, 0
	v_add_co_ci_u32_e32 v11, vcc_lo, 1, v14, vcc_lo
	s_branch .LBB10_115
.LBB10_114:                             ;   in Loop: Header=BB10_115 Depth=2
	v_sub_nc_u32_e32 v52, v52, v102
	v_add_co_u32 v84, s9, v84, v102
	s_delay_alu instid0(VALU_DEP_1) | instskip(NEXT) | instid1(VALU_DEP_3)
	v_add_co_ci_u32_e64 v85, s9, v85, v114, s9
	v_cmp_gt_i32_e32 vcc_lo, 1, v52
	v_add_nc_u32_e32 v82, v82, v2
	s_or_b32 s20, vcc_lo, s20
	s_delay_alu instid0(SALU_CYCLE_1)
	s_and_not1_b32 exec_lo, exec_lo, s20
	s_cbranch_execz .LBB10_151
.LBB10_115:                             ;   Parent Loop BB10_70 Depth=1
                                        ; =>  This Loop Header: Depth=2
                                        ;       Child Loop BB10_119 Depth 3
	s_delay_alu instid0(VALU_DEP_1) | instskip(NEXT) | instid1(VALU_DEP_1)
	v_ashrrev_i32_e32 v83, 31, v82
	v_lshlrev_b64 v[12:13], 4, v[82:83]
	s_delay_alu instid0(VALU_DEP_1) | instskip(NEXT) | instid1(VALU_DEP_2)
	v_add_co_u32 v96, vcc_lo, v129, v12
	v_add_co_ci_u32_e32 v97, vcc_lo, v130, v13, vcc_lo
	;;#ASMSTART
	global_load_b128 v[14:17], v[96:97], off glc slc dlc
s_waitcnt vmcnt(0)

	;;#ASMEND
	v_lshrrev_b64 v[86:87], 24, v[14:15]
	v_cmp_eq_u32_e32 vcc_lo, 0, v119
	v_lshrrev_b32_e32 v83, 8, v14
	v_lshrrev_b32_e32 v87, 16, v14
	s_and_saveexec_b32 s21, vcc_lo
	s_cbranch_execz .LBB10_133
; %bb.116:                              ;   in Loop: Header=BB10_115 Depth=2
	v_cmp_ne_u32_e64 s9, v128, v15
	v_cmp_ne_u32_e64 s10, v128, v17
	v_mov_b32_e32 v119, 0
	s_delay_alu instid0(VALU_DEP_2) | instskip(NEXT) | instid1(SALU_CYCLE_1)
	s_or_b32 s9, s9, s10
	s_and_saveexec_b32 s10, s9
	s_cbranch_execz .LBB10_132
; %bb.117:                              ;   in Loop: Header=BB10_115 Depth=2
	v_cndmask_b32_e64 v10, 0, 1, vcc_lo
	s_mov_b32 s22, 0
                                        ; implicit-def: $sgpr23
                                        ; implicit-def: $sgpr24
	s_branch .LBB10_119
.LBB10_118:                             ;   in Loop: Header=BB10_119 Depth=3
	s_or_b32 exec_lo, exec_lo, s25
	s_delay_alu instid0(SALU_CYCLE_1) | instskip(NEXT) | instid1(SALU_CYCLE_1)
	s_and_b32 s9, exec_lo, s9
	s_or_b32 s22, s9, s22
	s_and_not1_b32 s9, s23, exec_lo
	s_and_b32 s23, s24, exec_lo
	s_delay_alu instid0(SALU_CYCLE_1)
	s_or_b32 s23, s9, s23
	s_and_not1_b32 exec_lo, exec_lo, s22
	s_cbranch_execz .LBB10_127
.LBB10_119:                             ;   Parent Loop BB10_70 Depth=1
                                        ;     Parent Loop BB10_115 Depth=2
                                        ; =>    This Inner Loop Header: Depth=3
	s_delay_alu instid0(VALU_DEP_1)
	v_dual_mov_b32 v119, 0 :: v_dual_add_nc_u32 v10, 1, v10
	s_mov_b32 s9, -1
	s_mov_b32 s26, -1
	s_mov_b32 s25, exec_lo
	;;#ASMSTART
	global_load_b128 v[14:17], v[96:97], off glc slc dlc
s_waitcnt vmcnt(0)

	;;#ASMEND
	v_cmpx_eq_u32_e32 0x2710, v10
	s_cbranch_execz .LBB10_125
; %bb.120:                              ;   in Loop: Header=BB10_119 Depth=3
	s_cbranch_execnz .LBB10_367
; %bb.121:                              ;   in Loop: Header=BB10_119 Depth=3
	ds_load_b64 v[86:87], v0
	v_dual_mov_b32 v10, 0 :: v_dual_mov_b32 v119, 0
	s_mov_b32 s27, -1
	s_mov_b32 s26, exec_lo
	s_waitcnt vmcnt(0) lgkmcnt(0)
	s_waitcnt_vscnt null, 0x0
	flat_load_b32 v83, v[86:87] glc
	s_waitcnt vmcnt(0) lgkmcnt(0)
	buffer_gl1_inv
	buffer_gl0_inv
	v_cmpx_ne_u32_e32 0, v83
	s_cbranch_execz .LBB10_124
; %bb.122:                              ;   in Loop: Header=BB10_119 Depth=3
	ds_store_b32 v0, v83
	s_cbranch_execnz .LBB10_386
; %bb.123:                              ;   in Loop: Header=BB10_119 Depth=3
	v_mov_b32_e32 v119, 1
	s_xor_b32 s27, exec_lo, -1
.LBB10_124:                             ;   in Loop: Header=BB10_119 Depth=3
	s_or_b32 exec_lo, exec_lo, s26
	s_delay_alu instid0(SALU_CYCLE_1)
	s_or_not1_b32 s26, s27, exec_lo
.LBB10_125:                             ;   in Loop: Header=BB10_119 Depth=3
	s_or_b32 exec_lo, exec_lo, s25
	s_delay_alu instid0(SALU_CYCLE_1)
	s_or_b32 s24, s24, exec_lo
	s_and_saveexec_b32 s25, s26
	s_cbranch_execz .LBB10_118
; %bb.126:                              ;   in Loop: Header=BB10_119 Depth=3
	v_cmp_eq_u32_e32 vcc_lo, v128, v15
	v_cmp_eq_u32_e64 s9, v128, v17
	s_and_not1_b32 s24, s24, exec_lo
	s_delay_alu instid0(VALU_DEP_1) | instskip(NEXT) | instid1(SALU_CYCLE_1)
	s_and_b32 s9, vcc_lo, s9
	s_or_not1_b32 s9, s9, exec_lo
	s_branch .LBB10_118
.LBB10_127:                             ;   in Loop: Header=BB10_115 Depth=2
	s_or_b32 exec_lo, exec_lo, s22
	s_xor_b32 s9, s23, -1
                                        ; implicit-def: $vgpr86
                                        ; implicit-def: $vgpr87
                                        ; implicit-def: $vgpr83
	s_delay_alu instid0(SALU_CYCLE_1) | instskip(NEXT) | instid1(SALU_CYCLE_1)
	s_and_saveexec_b32 s22, s9
	s_xor_b32 s9, exec_lo, s22
; %bb.128:                              ;   in Loop: Header=BB10_115 Depth=2
	v_lshrrev_b64 v[86:87], 24, v[14:15]
	v_lshrrev_b32_e32 v83, 8, v14
	v_lshrrev_b32_e32 v87, 16, v14
; %bb.129:                              ;   in Loop: Header=BB10_115 Depth=2
	s_and_not1_saveexec_b32 s9, s9
; %bb.130:                              ;   in Loop: Header=BB10_115 Depth=2
	v_lshrrev_b64 v[86:87], 24, v[14:15]
	v_lshrrev_b32_e32 v83, 8, v14
	v_lshrrev_b32_e32 v87, 16, v14
; %bb.131:                              ;   in Loop: Header=BB10_115 Depth=2
	s_or_b32 exec_lo, exec_lo, s9
.LBB10_132:                             ;   in Loop: Header=BB10_115 Depth=2
	s_delay_alu instid0(SALU_CYCLE_1)
	s_or_b32 exec_lo, exec_lo, s10
.LBB10_133:                             ;   in Loop: Header=BB10_115 Depth=2
	s_delay_alu instid0(SALU_CYCLE_1)
	s_or_b32 exec_lo, exec_lo, s21
	v_add_co_u32 v96, vcc_lo, v131, v12
	v_add_co_ci_u32_e32 v97, vcc_lo, v132, v13, vcc_lo
	v_cmp_lt_u32_e32 vcc_lo, 7, v52
	v_or_b32_e32 v10, v14, v133
	v_or_b32_e32 v12, v16, v133
	v_mov_b32_e32 v13, v11
	v_cndmask_b32_e64 v15, 0, 1, vcc_lo
	global_store_b128 v[96:97], v[10:13], off
	;;#ASMSTART
	;;#ASMEND
	v_cmp_ne_u32_e64 s9, 0, v15
	s_delay_alu instid0(VALU_DEP_1)
	s_cmp_lg_u32 s9, exec_lo
	s_mov_b32 s9, -1
	s_cbranch_scc0 .LBB10_149
; %bb.134:                              ;   in Loop: Header=BB10_115 Depth=2
	s_mov_b32 s10, exec_lo
	flat_store_b8 v[84:85], v14
	v_cmpx_ne_u32_e32 1, v52
	s_cbranch_execz .LBB10_136
; %bb.135:                              ;   in Loop: Header=BB10_115 Depth=2
	flat_store_b8 v[84:85], v83 offset:1
.LBB10_136:                             ;   in Loop: Header=BB10_115 Depth=2
	s_or_b32 exec_lo, exec_lo, s10
	s_delay_alu instid0(SALU_CYCLE_1)
	s_mov_b32 s10, exec_lo
	v_cmpx_lt_u32_e32 2, v52
	s_cbranch_execz .LBB10_138
; %bb.137:                              ;   in Loop: Header=BB10_115 Depth=2
	flat_store_b8 v[84:85], v87 offset:2
.LBB10_138:                             ;   in Loop: Header=BB10_115 Depth=2
	s_or_b32 exec_lo, exec_lo, s10
	s_delay_alu instid0(SALU_CYCLE_1)
	s_mov_b32 s10, exec_lo
	v_cmpx_lt_u32_e32 3, v52
	;; [unrolled: 8-line block ×4, first 2 shown]
	s_cbranch_execz .LBB10_144
; %bb.143:                              ;   in Loop: Header=BB10_115 Depth=2
	v_lshrrev_b32_e32 v10, 8, v16
	flat_store_b8 v[84:85], v10 offset:5
.LBB10_144:                             ;   in Loop: Header=BB10_115 Depth=2
	s_or_b32 exec_lo, exec_lo, s10
	s_delay_alu instid0(SALU_CYCLE_1)
	s_mov_b32 s10, exec_lo
	v_cmpx_lt_u32_e32 6, v52
	s_cbranch_execz .LBB10_146
; %bb.145:                              ;   in Loop: Header=BB10_115 Depth=2
	flat_store_d16_hi_b8 v[84:85], v16 offset:6
.LBB10_146:                             ;   in Loop: Header=BB10_115 Depth=2
	s_or_b32 exec_lo, exec_lo, s10
	s_and_saveexec_b32 s9, vcc_lo
	s_cbranch_execz .LBB10_148
; %bb.147:                              ;   in Loop: Header=BB10_115 Depth=2
	v_lshrrev_b32_e32 v10, 24, v16
	flat_store_b8 v[84:85], v10 offset:7
.LBB10_148:                             ;   in Loop: Header=BB10_115 Depth=2
	s_or_b32 exec_lo, exec_lo, s9
	s_mov_b32 s9, 0
.LBB10_149:                             ;   in Loop: Header=BB10_115 Depth=2
	s_delay_alu instid0(SALU_CYCLE_1)
	s_and_b32 vcc_lo, exec_lo, s9
	s_cbranch_vccz .LBB10_114
; %bb.150:                              ;   in Loop: Header=BB10_115 Depth=2
	v_or_b32_e32 v15, 0, v16
	global_store_b64 v[84:85], v[14:15], off
	s_branch .LBB10_114
.LBB10_151:                             ;   in Loop: Header=BB10_70 Depth=1
	s_or_b32 exec_lo, exec_lo, s20
.LBB10_152:                             ;   in Loop: Header=BB10_70 Depth=1
	s_delay_alu instid0(SALU_CYCLE_1)
	s_or_b32 exec_lo, exec_lo, s19
	s_and_saveexec_b32 s9, s5
	s_cbranch_execz .LBB10_174
; %bb.153:                              ;   in Loop: Header=BB10_70 Depth=1
	s_and_saveexec_b32 s10, s6
	s_delay_alu instid0(SALU_CYCLE_1)
	s_xor_b32 s10, exec_lo, s10
	s_cbranch_execz .LBB10_171
; %bb.154:                              ;   in Loop: Header=BB10_70 Depth=1
	s_and_saveexec_b32 s19, s7
	s_cbranch_execz .LBB10_170
; %bb.155:                              ;   in Loop: Header=BB10_70 Depth=1
	s_mov_b32 s21, exec_lo
	s_mov_b32 s20, exec_lo
	v_mbcnt_lo_u32_b32 v10, s21, 0
	s_waitcnt vmcnt(0) lgkmcnt(0)
	s_waitcnt_vscnt null, 0x0
	buffer_gl1_inv
	buffer_gl0_inv
	v_cmpx_eq_u32_e32 0, v10
	s_cbranch_execz .LBB10_157
; %bb.156:                              ;   in Loop: Header=BB10_70 Depth=1
	s_bcnt1_i32_b32 s21, s21
	s_delay_alu instid0(SALU_CYCLE_1)
	v_mov_b32_e32 v52, s21
	ds_add_u64 v0, v[52:53]
	s_cbranch_execnz .LBB10_431
.LBB10_157:                             ;   in Loop: Header=BB10_70 Depth=1
	s_or_b32 exec_lo, exec_lo, s20
	s_cbranch_execnz .LBB10_417
; %bb.158:                              ;   in Loop: Header=BB10_70 Depth=1
	ds_load_b64 v[10:11], v0
	v_add_co_u32 v50, vcc_lo, v50, v99
	v_add_co_ci_u32_e32 v51, vcc_lo, v51, v101, vcc_lo
	s_mov_b32 s20, exec_lo
	s_waitcnt lgkmcnt(0)
	s_delay_alu instid0(VALU_DEP_1)
	v_cmpx_lt_u64_e64 v[10:11], v[50:51]
	s_cbranch_execz .LBB10_169
; %bb.159:                              ;   in Loop: Header=BB10_70 Depth=1
	s_mov_b32 s21, 0
	s_mov_b32 s24, 0
                                        ; implicit-def: $sgpr22
                                        ; implicit-def: $sgpr23
	s_branch .LBB10_161
.LBB10_160:                             ;   in Loop: Header=BB10_161 Depth=2
	s_or_b32 exec_lo, exec_lo, s27
	s_delay_alu instid0(SALU_CYCLE_1) | instskip(NEXT) | instid1(SALU_CYCLE_1)
	s_and_b32 s25, exec_lo, s26
	s_or_b32 s21, s25, s21
	s_and_not1_b32 s22, s22, exec_lo
	s_and_b32 s25, s23, exec_lo
	s_delay_alu instid0(SALU_CYCLE_1)
	s_or_b32 s22, s22, s25
	s_and_not1_b32 exec_lo, exec_lo, s21
	s_cbranch_execz .LBB10_167
.LBB10_161:                             ;   Parent Loop BB10_70 Depth=1
                                        ; =>  This Inner Loop Header: Depth=2
	s_add_i32 s24, s24, 1
                                        ; implicit-def: $sgpr26
	s_delay_alu instid0(SALU_CYCLE_1) | instskip(SKIP_1) | instid1(SALU_CYCLE_1)
	s_cmpk_lg_i32 s24, 0x2710
	s_cselect_b32 s25, -1, 0
	s_and_b32 vcc_lo, exec_lo, s25
	s_cbranch_vccz .LBB10_165
.LBB10_162:                             ;   in Loop: Header=BB10_161 Depth=2
	s_and_not1_b32 s23, s23, exec_lo
	s_and_b32 s27, s26, exec_lo
	s_mov_b32 s26, -1
	s_or_b32 s23, s23, s27
	s_and_saveexec_b32 s27, s25
	s_cbranch_execz .LBB10_160
; %bb.163:                              ;   in Loop: Header=BB10_161 Depth=2
	s_sleep 1
	s_cbranch_execnz .LBB10_447
; %bb.164:                              ;   in Loop: Header=BB10_161 Depth=2
	ds_load_b64 v[10:11], v0
	s_and_not1_b32 s23, s23, exec_lo
	s_waitcnt lgkmcnt(0)
	v_cmp_ge_u64_e32 vcc_lo, v[10:11], v[50:51]
	s_or_not1_b32 s26, vcc_lo, exec_lo
	s_branch .LBB10_160
.LBB10_165:                             ;   in Loop: Header=BB10_161 Depth=2
	s_cbranch_execnz .LBB10_451
; %bb.166:                              ;   in Loop: Header=BB10_161 Depth=2
	ds_load_b64 v[10:11], v0
	s_and_not1_b32 s25, s25, exec_lo
	s_mov_b32 s24, 0
	s_mov_b32 s26, -1
	s_waitcnt lgkmcnt(0)
	flat_load_b32 v10, v[10:11] glc
	s_waitcnt vmcnt(0) lgkmcnt(0)
	buffer_gl1_inv
	buffer_gl0_inv
	v_cmp_eq_u32_e32 vcc_lo, 0, v10
	s_and_b32 s27, vcc_lo, exec_lo
	s_delay_alu instid0(SALU_CYCLE_1)
	s_or_b32 s25, s25, s27
	s_branch .LBB10_162
.LBB10_167:                             ;   in Loop: Header=BB10_70 Depth=1
	s_or_b32 exec_lo, exec_lo, s21
	s_and_saveexec_b32 s21, s22
	s_delay_alu instid0(SALU_CYCLE_1)
	s_xor_b32 s21, exec_lo, s21
	s_cbranch_execz .LBB10_169
; %bb.168:                              ;   in Loop: Header=BB10_70 Depth=1
	ds_store_b32 v0, v118
	s_cbranch_execnz .LBB10_471
.LBB10_169:                             ;   in Loop: Header=BB10_70 Depth=1
	s_or_b32 exec_lo, exec_lo, s20
	;;#ASMSTART
	s_wakeup
	;;#ASMEND
.LBB10_170:                             ;   in Loop: Header=BB10_70 Depth=1
	s_or_b32 exec_lo, exec_lo, s19
.LBB10_171:                             ;   in Loop: Header=BB10_70 Depth=1
	s_and_not1_saveexec_b32 s10, s10
	s_cbranch_execz .LBB10_173
; %bb.172:                              ;   in Loop: Header=BB10_70 Depth=1
	s_waitcnt vmcnt(0) lgkmcnt(0)
	s_waitcnt_vscnt null, 0x0
	buffer_gl1_inv
	buffer_gl0_inv
	s_barrier
.LBB10_173:                             ;   in Loop: Header=BB10_70 Depth=1
	s_or_b32 exec_lo, exec_lo, s10
.LBB10_174:                             ;   in Loop: Header=BB10_70 Depth=1
	s_delay_alu instid0(SALU_CYCLE_1)
	s_or_b32 exec_lo, exec_lo, s9
	s_and_saveexec_b32 s9, s8
	s_cbranch_execz .LBB10_176
; %bb.175:                              ;   in Loop: Header=BB10_70 Depth=1
	v_add_co_u32 v36, vcc_lo, v36, 1
	v_add_co_ci_u32_e32 v37, vcc_lo, 0, v37, vcc_lo
	s_waitcnt vmcnt(0) lgkmcnt(0)
	s_waitcnt_vscnt null, 0x0
	flat_store_b64 v[28:29], v[36:37]
.LBB10_176:                             ;   in Loop: Header=BB10_70 Depth=1
	s_or_b32 exec_lo, exec_lo, s9
	v_and_b32_e32 v52, 0x7ffffff8, v34
	v_cmp_gt_i32_e64 s9, s14, v82
	s_delay_alu instid0(VALU_DEP_2) | instskip(NEXT) | instid1(VALU_DEP_2)
	v_cmp_eq_u64_e32 vcc_lo, 0x7ffffff8, v[52:53]
	s_and_b32 s9, vcc_lo, s9
	s_delay_alu instid0(SALU_CYCLE_1)
	s_and_saveexec_b32 s10, s9
	s_cbranch_execz .LBB10_179
; %bb.177:                              ;   in Loop: Header=BB10_70 Depth=1
	v_and_b32_e32 v10, 7, v34
	v_ashrrev_i32_e32 v83, 31, v82
	v_mov_b32_e32 v14, v34
	s_mov_b32 s19, 0
	s_delay_alu instid0(VALU_DEP_3) | instskip(NEXT) | instid1(VALU_DEP_3)
	v_mul_lo_u32 v10, v10, s14
	v_lshlrev_b64 v[12:13], 4, v[82:83]
	s_delay_alu instid0(VALU_DEP_2) | instskip(NEXT) | instid1(VALU_DEP_1)
	v_ashrrev_i32_e32 v11, 31, v10
	v_lshlrev_b64 v[10:11], 4, v[10:11]
	s_delay_alu instid0(VALU_DEP_1) | instskip(NEXT) | instid1(VALU_DEP_2)
	v_add_co_u32 v12, vcc_lo, v12, v10
	v_add_co_ci_u32_e32 v13, vcc_lo, v13, v11, vcc_lo
	v_add_co_u32 v10, vcc_lo, 0, 0
	v_add_co_ci_u32_e32 v11, vcc_lo, 1, v14, vcc_lo
	s_delay_alu instid0(VALU_DEP_4) | instskip(NEXT) | instid1(VALU_DEP_4)
	v_add_co_u32 v14, vcc_lo, v32, v12
	v_add_co_ci_u32_e32 v15, vcc_lo, v33, v13, vcc_lo
.LBB10_178:                             ;   Parent Loop BB10_70 Depth=1
                                        ; =>  This Inner Loop Header: Depth=2
	s_delay_alu instid0(VALU_DEP_3) | instskip(SKIP_4) | instid1(VALU_DEP_1)
	v_dual_mov_b32 v12, v10 :: v_dual_mov_b32 v13, v11
	v_add_nc_u32_e32 v82, v82, v2
	global_store_b128 v[14:15], v[10:13], off
	v_cmp_le_i32_e32 vcc_lo, s14, v82
	v_add_co_u32 v14, s9, v14, v68
	v_add_co_ci_u32_e64 v15, s9, v15, v69, s9
	s_or_b32 s19, vcc_lo, s19
	s_delay_alu instid0(SALU_CYCLE_1)
	s_and_not1_b32 exec_lo, exec_lo, s19
	s_cbranch_execnz .LBB10_178
.LBB10_179:                             ;   in Loop: Header=BB10_70 Depth=1
	s_or_b32 exec_lo, exec_lo, s10
	v_add_co_u32 v24, vcc_lo, v24, 1
	v_add_co_ci_u32_e32 v25, vcc_lo, 0, v25, vcc_lo
	v_add_co_u32 v34, vcc_lo, v34, 1
	v_add_co_ci_u32_e32 v35, vcc_lo, 0, v35, vcc_lo
                                        ; implicit-def: $vgpr12
                                        ; implicit-def: $vgpr13
                                        ; implicit-def: $vgpr15
.LBB10_180:                             ;   in Loop: Header=BB10_70 Depth=1
	s_and_not1_saveexec_b32 s18, s18
	s_cbranch_execz .LBB10_242
; %bb.181:                              ;   in Loop: Header=BB10_70 Depth=1
	v_sub_nc_u32_e32 v52, v12, v100
	s_mov_b32 s19, exec_lo
	s_delay_alu instid0(VALU_DEP_1)
	v_cmpx_lt_i32_e32 0, v52
	s_cbranch_execz .LBB10_217
; %bb.182:                              ;   in Loop: Header=BB10_70 Depth=1
	v_and_b32_e32 v10, 7, v24
	v_add_co_u32 v14, vcc_lo, v112, v13
	v_add_co_ci_u32_e32 v15, vcc_lo, v113, v15, vcc_lo
	s_delay_alu instid0(VALU_DEP_3) | instskip(SKIP_3) | instid1(VALU_DEP_3)
	v_mul_lo_u32 v10, v10, s14
	v_add_nc_u32_e32 v86, 1, v24
	v_mov_b32_e32 v16, v0
	s_mov_b32 s20, 0
	v_ashrrev_i32_e32 v11, 31, v10
	s_delay_alu instid0(VALU_DEP_1) | instskip(NEXT) | instid1(VALU_DEP_1)
	v_lshlrev_b64 v[10:11], 4, v[10:11]
	v_add_co_u32 v87, vcc_lo, v22, v10
	s_delay_alu instid0(VALU_DEP_2)
	v_add_co_ci_u32_e32 v96, vcc_lo, v23, v11, vcc_lo
	s_branch .LBB10_184
.LBB10_183:                             ;   in Loop: Header=BB10_184 Depth=2
	v_sub_nc_u32_e32 v52, v52, v102
	v_add_co_u32 v14, s9, v14, v102
	s_delay_alu instid0(VALU_DEP_1) | instskip(NEXT) | instid1(VALU_DEP_3)
	v_add_co_ci_u32_e64 v15, s9, v15, v114, s9
	v_cmp_gt_i32_e32 vcc_lo, 1, v52
	v_add_nc_u32_e32 v16, v16, v2
	s_or_b32 s20, vcc_lo, s20
	s_delay_alu instid0(SALU_CYCLE_1)
	s_and_not1_b32 exec_lo, exec_lo, s20
	s_cbranch_execz .LBB10_216
.LBB10_184:                             ;   Parent Loop BB10_70 Depth=1
                                        ; =>  This Loop Header: Depth=2
                                        ;       Child Loop BB10_188 Depth 3
	s_delay_alu instid0(VALU_DEP_1) | instskip(NEXT) | instid1(VALU_DEP_1)
	v_ashrrev_i32_e32 v17, 31, v16
	v_lshlrev_b64 v[10:11], 4, v[16:17]
	s_delay_alu instid0(VALU_DEP_1) | instskip(NEXT) | instid1(VALU_DEP_2)
	v_add_co_u32 v84, vcc_lo, v87, v10
	v_add_co_ci_u32_e32 v85, vcc_lo, v96, v11, vcc_lo
	;;#ASMSTART
	global_load_b128 v[10:13], v[84:85], off glc slc dlc
s_waitcnt vmcnt(0)

	;;#ASMEND
	v_lshrrev_b64 v[82:83], 24, v[10:11]
	v_cmp_eq_u32_e32 vcc_lo, 0, v119
	v_lshrrev_b32_e32 v97, 8, v10
	v_lshrrev_b32_e32 v17, 16, v10
	s_and_saveexec_b32 s21, vcc_lo
	s_cbranch_execz .LBB10_198
; %bb.185:                              ;   in Loop: Header=BB10_184 Depth=2
	v_cmp_ne_u32_e64 s9, v86, v11
	v_cmp_ne_u32_e64 s10, v86, v13
	v_mov_b32_e32 v119, 0
	s_delay_alu instid0(VALU_DEP_2) | instskip(NEXT) | instid1(SALU_CYCLE_1)
	s_or_b32 s9, s9, s10
	s_and_saveexec_b32 s10, s9
	s_cbranch_execz .LBB10_197
; %bb.186:                              ;   in Loop: Header=BB10_184 Depth=2
	v_cndmask_b32_e64 v17, 0, 1, vcc_lo
	s_mov_b32 s23, 0
                                        ; implicit-def: $sgpr22
                                        ; implicit-def: $sgpr24
	s_branch .LBB10_188
.LBB10_187:                             ;   in Loop: Header=BB10_188 Depth=3
	s_or_b32 exec_lo, exec_lo, s25
	s_delay_alu instid0(SALU_CYCLE_1) | instskip(NEXT) | instid1(SALU_CYCLE_1)
	s_and_b32 s9, exec_lo, s9
	s_or_b32 s23, s9, s23
	s_and_not1_b32 s9, s22, exec_lo
	s_and_b32 s22, s24, exec_lo
	s_delay_alu instid0(SALU_CYCLE_1)
	s_or_b32 s22, s9, s22
	s_and_not1_b32 exec_lo, exec_lo, s23
	s_cbranch_execz .LBB10_196
.LBB10_188:                             ;   Parent Loop BB10_70 Depth=1
                                        ;     Parent Loop BB10_184 Depth=2
                                        ; =>    This Inner Loop Header: Depth=3
	s_delay_alu instid0(VALU_DEP_1)
	v_add_nc_u32_e32 v17, 1, v17
	v_mov_b32_e32 v119, 0
	s_mov_b32 s9, -1
	s_mov_b32 s26, -1
	s_mov_b32 s25, exec_lo
	;;#ASMSTART
	global_load_b128 v[10:13], v[84:85], off glc slc dlc
s_waitcnt vmcnt(0)

	;;#ASMEND
	v_cmpx_eq_u32_e32 0x2710, v17
	s_cbranch_execz .LBB10_194
; %bb.189:                              ;   in Loop: Header=BB10_188 Depth=3
	s_cbranch_execnz .LBB10_369
; %bb.190:                              ;   in Loop: Header=BB10_188 Depth=3
	ds_load_b64 v[82:83], v0
	v_mov_b32_e32 v17, 0
	v_mov_b32_e32 v119, 0
	s_mov_b32 s27, -1
	s_mov_b32 s26, exec_lo
	s_waitcnt vmcnt(0) lgkmcnt(0)
	s_waitcnt_vscnt null, 0x0
	flat_load_b32 v82, v[82:83] glc
	s_waitcnt vmcnt(0) lgkmcnt(0)
	buffer_gl1_inv
	buffer_gl0_inv
	v_cmpx_ne_u32_e32 0, v82
	s_cbranch_execz .LBB10_193
; %bb.191:                              ;   in Loop: Header=BB10_188 Depth=3
	ds_store_b32 v0, v82
	s_cbranch_execnz .LBB10_392
; %bb.192:                              ;   in Loop: Header=BB10_188 Depth=3
	v_mov_b32_e32 v119, 1
	s_xor_b32 s27, exec_lo, -1
.LBB10_193:                             ;   in Loop: Header=BB10_188 Depth=3
	s_or_b32 exec_lo, exec_lo, s26
	s_delay_alu instid0(SALU_CYCLE_1)
	s_or_not1_b32 s26, s27, exec_lo
.LBB10_194:                             ;   in Loop: Header=BB10_188 Depth=3
	s_or_b32 exec_lo, exec_lo, s25
	s_delay_alu instid0(SALU_CYCLE_1)
	s_or_b32 s24, s24, exec_lo
	s_and_saveexec_b32 s25, s26
	s_cbranch_execz .LBB10_187
; %bb.195:                              ;   in Loop: Header=BB10_188 Depth=3
	v_cmp_eq_u32_e32 vcc_lo, v86, v11
	v_cmp_eq_u32_e64 s9, v86, v13
	s_and_not1_b32 s24, s24, exec_lo
	s_delay_alu instid0(VALU_DEP_1) | instskip(NEXT) | instid1(SALU_CYCLE_1)
	s_and_b32 s9, vcc_lo, s9
	s_or_not1_b32 s9, s9, exec_lo
	s_branch .LBB10_187
.LBB10_196:                             ;   in Loop: Header=BB10_184 Depth=2
	s_or_b32 exec_lo, exec_lo, s23
	v_lshrrev_b64 v[82:83], 24, v[10:11]
	v_lshrrev_b32_e32 v97, 8, v10
	v_lshrrev_b32_e32 v17, 16, v10
	s_xor_b32 s9, s22, -1
	s_delay_alu instid0(SALU_CYCLE_1) | instskip(NEXT) | instid1(SALU_CYCLE_1)
	s_and_saveexec_b32 s22, s9
	s_xor_b32 s9, exec_lo, s22
	s_delay_alu instid0(SALU_CYCLE_1) | instskip(NEXT) | instid1(SALU_CYCLE_1)
	s_and_not1_saveexec_b32 s9, s9
	s_or_b32 exec_lo, exec_lo, s9
.LBB10_197:                             ;   in Loop: Header=BB10_184 Depth=2
	s_delay_alu instid0(SALU_CYCLE_1)
	s_or_b32 exec_lo, exec_lo, s10
.LBB10_198:                             ;   in Loop: Header=BB10_184 Depth=2
	s_delay_alu instid0(SALU_CYCLE_1) | instskip(SKIP_3) | instid1(VALU_DEP_1)
	s_or_b32 exec_lo, exec_lo, s21
	v_cmp_lt_u32_e32 vcc_lo, 7, v52
	v_cndmask_b32_e64 v11, 0, 1, vcc_lo
	;;#ASMSTART
	;;#ASMEND
	v_cmp_ne_u32_e64 s9, 0, v11
	s_delay_alu instid0(VALU_DEP_1)
	s_cmp_lg_u32 s9, exec_lo
	s_mov_b32 s9, -1
	s_cbranch_scc0 .LBB10_214
; %bb.199:                              ;   in Loop: Header=BB10_184 Depth=2
	s_mov_b32 s10, exec_lo
	flat_store_b8 v[14:15], v10
	v_cmpx_ne_u32_e32 1, v52
	s_cbranch_execz .LBB10_201
; %bb.200:                              ;   in Loop: Header=BB10_184 Depth=2
	flat_store_b8 v[14:15], v97 offset:1
.LBB10_201:                             ;   in Loop: Header=BB10_184 Depth=2
	s_or_b32 exec_lo, exec_lo, s10
	s_delay_alu instid0(SALU_CYCLE_1)
	s_mov_b32 s10, exec_lo
	v_cmpx_lt_u32_e32 2, v52
	s_cbranch_execz .LBB10_203
; %bb.202:                              ;   in Loop: Header=BB10_184 Depth=2
	flat_store_b8 v[14:15], v17 offset:2
.LBB10_203:                             ;   in Loop: Header=BB10_184 Depth=2
	s_or_b32 exec_lo, exec_lo, s10
	s_delay_alu instid0(SALU_CYCLE_1)
	s_mov_b32 s10, exec_lo
	v_cmpx_lt_u32_e32 3, v52
	;; [unrolled: 8-line block ×4, first 2 shown]
	s_cbranch_execz .LBB10_209
; %bb.208:                              ;   in Loop: Header=BB10_184 Depth=2
	v_lshrrev_b32_e32 v11, 8, v12
	flat_store_b8 v[14:15], v11 offset:5
.LBB10_209:                             ;   in Loop: Header=BB10_184 Depth=2
	s_or_b32 exec_lo, exec_lo, s10
	s_delay_alu instid0(SALU_CYCLE_1)
	s_mov_b32 s10, exec_lo
	v_cmpx_lt_u32_e32 6, v52
	s_cbranch_execz .LBB10_211
; %bb.210:                              ;   in Loop: Header=BB10_184 Depth=2
	flat_store_d16_hi_b8 v[14:15], v12 offset:6
.LBB10_211:                             ;   in Loop: Header=BB10_184 Depth=2
	s_or_b32 exec_lo, exec_lo, s10
	s_and_saveexec_b32 s9, vcc_lo
	s_cbranch_execz .LBB10_213
; %bb.212:                              ;   in Loop: Header=BB10_184 Depth=2
	v_lshrrev_b32_e32 v11, 24, v12
	flat_store_b8 v[14:15], v11 offset:7
.LBB10_213:                             ;   in Loop: Header=BB10_184 Depth=2
	s_or_b32 exec_lo, exec_lo, s9
	s_mov_b32 s9, 0
.LBB10_214:                             ;   in Loop: Header=BB10_184 Depth=2
	s_delay_alu instid0(SALU_CYCLE_1)
	s_and_b32 vcc_lo, exec_lo, s9
	s_cbranch_vccz .LBB10_183
; %bb.215:                              ;   in Loop: Header=BB10_184 Depth=2
	v_mov_b32_e32 v11, v12
	global_store_b64 v[14:15], v[10:11], off
	s_branch .LBB10_183
.LBB10_216:                             ;   in Loop: Header=BB10_70 Depth=1
	s_or_b32 exec_lo, exec_lo, s20
.LBB10_217:                             ;   in Loop: Header=BB10_70 Depth=1
	s_delay_alu instid0(SALU_CYCLE_1)
	s_or_b32 exec_lo, exec_lo, s19
	s_and_saveexec_b32 s9, s5
	s_cbranch_execz .LBB10_239
; %bb.218:                              ;   in Loop: Header=BB10_70 Depth=1
	s_and_saveexec_b32 s10, s6
	s_delay_alu instid0(SALU_CYCLE_1)
	s_xor_b32 s10, exec_lo, s10
	s_cbranch_execz .LBB10_236
; %bb.219:                              ;   in Loop: Header=BB10_70 Depth=1
	s_and_saveexec_b32 s19, s7
	s_cbranch_execz .LBB10_235
; %bb.220:                              ;   in Loop: Header=BB10_70 Depth=1
	s_mov_b32 s21, exec_lo
	s_mov_b32 s20, exec_lo
	v_mbcnt_lo_u32_b32 v10, s21, 0
	s_waitcnt vmcnt(0) lgkmcnt(0)
	s_waitcnt_vscnt null, 0x0
	buffer_gl1_inv
	buffer_gl0_inv
	v_cmpx_eq_u32_e32 0, v10
	s_cbranch_execz .LBB10_222
; %bb.221:                              ;   in Loop: Header=BB10_70 Depth=1
	s_bcnt1_i32_b32 s21, s21
	s_delay_alu instid0(SALU_CYCLE_1)
	v_mov_b32_e32 v52, s21
	ds_add_u64 v0, v[52:53]
	s_cbranch_execnz .LBB10_433
.LBB10_222:                             ;   in Loop: Header=BB10_70 Depth=1
	s_or_b32 exec_lo, exec_lo, s20
	s_cbranch_execnz .LBB10_421
; %bb.223:                              ;   in Loop: Header=BB10_70 Depth=1
	ds_load_b64 v[10:11], v0
	v_add_co_u32 v50, vcc_lo, v50, v99
	v_add_co_ci_u32_e32 v51, vcc_lo, v51, v101, vcc_lo
	s_mov_b32 s20, exec_lo
	s_waitcnt lgkmcnt(0)
	s_delay_alu instid0(VALU_DEP_1)
	v_cmpx_lt_u64_e64 v[10:11], v[50:51]
	s_cbranch_execz .LBB10_234
; %bb.224:                              ;   in Loop: Header=BB10_70 Depth=1
	s_mov_b32 s21, 0
	s_mov_b32 s24, 0
                                        ; implicit-def: $sgpr22
                                        ; implicit-def: $sgpr23
	s_branch .LBB10_226
.LBB10_225:                             ;   in Loop: Header=BB10_226 Depth=2
	s_or_b32 exec_lo, exec_lo, s27
	s_delay_alu instid0(SALU_CYCLE_1) | instskip(NEXT) | instid1(SALU_CYCLE_1)
	s_and_b32 s25, exec_lo, s26
	s_or_b32 s21, s25, s21
	s_and_not1_b32 s22, s22, exec_lo
	s_and_b32 s25, s23, exec_lo
	s_delay_alu instid0(SALU_CYCLE_1)
	s_or_b32 s22, s22, s25
	s_and_not1_b32 exec_lo, exec_lo, s21
	s_cbranch_execz .LBB10_232
.LBB10_226:                             ;   Parent Loop BB10_70 Depth=1
                                        ; =>  This Inner Loop Header: Depth=2
	s_add_i32 s24, s24, 1
                                        ; implicit-def: $sgpr26
	s_delay_alu instid0(SALU_CYCLE_1) | instskip(SKIP_1) | instid1(SALU_CYCLE_1)
	s_cmpk_lg_i32 s24, 0x2710
	s_cselect_b32 s25, -1, 0
	s_and_b32 vcc_lo, exec_lo, s25
	s_cbranch_vccz .LBB10_230
.LBB10_227:                             ;   in Loop: Header=BB10_226 Depth=2
	s_and_not1_b32 s23, s23, exec_lo
	s_and_b32 s27, s26, exec_lo
	s_mov_b32 s26, -1
	s_or_b32 s23, s23, s27
	s_and_saveexec_b32 s27, s25
	s_cbranch_execz .LBB10_225
; %bb.228:                              ;   in Loop: Header=BB10_226 Depth=2
	s_sleep 1
	s_cbranch_execnz .LBB10_449
; %bb.229:                              ;   in Loop: Header=BB10_226 Depth=2
	ds_load_b64 v[10:11], v0
	s_and_not1_b32 s23, s23, exec_lo
	s_waitcnt lgkmcnt(0)
	v_cmp_ge_u64_e32 vcc_lo, v[10:11], v[50:51]
	s_or_not1_b32 s26, vcc_lo, exec_lo
	s_branch .LBB10_225
.LBB10_230:                             ;   in Loop: Header=BB10_226 Depth=2
	s_cbranch_execnz .LBB10_453
; %bb.231:                              ;   in Loop: Header=BB10_226 Depth=2
	ds_load_b64 v[10:11], v0
	s_and_not1_b32 s25, s25, exec_lo
	s_mov_b32 s24, 0
	s_mov_b32 s26, -1
	s_waitcnt lgkmcnt(0)
	flat_load_b32 v10, v[10:11] glc
	s_waitcnt vmcnt(0) lgkmcnt(0)
	buffer_gl1_inv
	buffer_gl0_inv
	v_cmp_eq_u32_e32 vcc_lo, 0, v10
	s_and_b32 s27, vcc_lo, exec_lo
	s_delay_alu instid0(SALU_CYCLE_1)
	s_or_b32 s25, s25, s27
	s_branch .LBB10_227
.LBB10_232:                             ;   in Loop: Header=BB10_70 Depth=1
	s_or_b32 exec_lo, exec_lo, s21
	s_and_saveexec_b32 s21, s22
	s_delay_alu instid0(SALU_CYCLE_1)
	s_xor_b32 s21, exec_lo, s21
	s_cbranch_execz .LBB10_234
; %bb.233:                              ;   in Loop: Header=BB10_70 Depth=1
	ds_store_b32 v0, v118
	s_cbranch_execnz .LBB10_473
.LBB10_234:                             ;   in Loop: Header=BB10_70 Depth=1
	s_or_b32 exec_lo, exec_lo, s20
	;;#ASMSTART
	s_wakeup
	;;#ASMEND
.LBB10_235:                             ;   in Loop: Header=BB10_70 Depth=1
	s_or_b32 exec_lo, exec_lo, s19
.LBB10_236:                             ;   in Loop: Header=BB10_70 Depth=1
	s_and_not1_saveexec_b32 s10, s10
	s_cbranch_execz .LBB10_238
; %bb.237:                              ;   in Loop: Header=BB10_70 Depth=1
	s_waitcnt vmcnt(0) lgkmcnt(0)
	s_waitcnt_vscnt null, 0x0
	buffer_gl1_inv
	buffer_gl0_inv
	s_barrier
.LBB10_238:                             ;   in Loop: Header=BB10_70 Depth=1
	s_or_b32 exec_lo, exec_lo, s10
.LBB10_239:                             ;   in Loop: Header=BB10_70 Depth=1
	s_delay_alu instid0(SALU_CYCLE_1)
	s_or_b32 exec_lo, exec_lo, s9
	s_and_saveexec_b32 s9, s8
	s_cbranch_execz .LBB10_241
; %bb.240:                              ;   in Loop: Header=BB10_70 Depth=1
	v_add_co_u32 v36, vcc_lo, v36, 1
	v_add_co_ci_u32_e32 v37, vcc_lo, 0, v37, vcc_lo
	s_waitcnt vmcnt(0) lgkmcnt(0)
	s_waitcnt_vscnt null, 0x0
	flat_store_b64 v[28:29], v[36:37]
.LBB10_241:                             ;   in Loop: Header=BB10_70 Depth=1
	s_or_b32 exec_lo, exec_lo, s9
	v_add_co_u32 v24, vcc_lo, v24, 1
	v_add_co_ci_u32_e32 v25, vcc_lo, 0, v25, vcc_lo
.LBB10_242:                             ;   in Loop: Header=BB10_70 Depth=1
	s_or_b32 exec_lo, exec_lo, s18
                                        ; implicit-def: $vgpr12
.LBB10_243:                             ;   in Loop: Header=BB10_70 Depth=1
	s_and_not1_saveexec_b32 s17, s17
	s_cbranch_execz .LBB10_69
; %bb.244:                              ;   in Loop: Header=BB10_70 Depth=1
	v_add_nc_u32_e32 v10, 7, v12
	s_delay_alu instid0(VALU_DEP_1) | instskip(NEXT) | instid1(VALU_DEP_1)
	v_ashrrev_i32_e32 v11, 31, v10
	v_lshrrev_b32_e32 v11, 29, v11
	s_delay_alu instid0(VALU_DEP_1) | instskip(NEXT) | instid1(VALU_DEP_1)
	v_add_nc_u32_e32 v10, v10, v11
	v_ashrrev_i32_e32 v13, 3, v10
	s_and_saveexec_b32 s9, s16
	s_delay_alu instid0(SALU_CYCLE_1)
	s_xor_b32 s18, exec_lo, s9
	s_cbranch_execz .LBB10_315
; %bb.245:                              ;   in Loop: Header=BB10_70 Depth=1
	s_and_saveexec_b32 s9, s3
	s_cbranch_execz .LBB10_263
; %bb.246:                              ;   in Loop: Header=BB10_70 Depth=1
	v_add_co_u32 v10, vcc_lo, v8, 1
	v_add_co_ci_u32_e32 v11, vcc_lo, 0, v9, vcc_lo
	s_waitcnt vmcnt(0) lgkmcnt(0)
	v_add_co_u32 v14, vcc_lo, v48, 8
	v_add_co_ci_u32_e32 v15, vcc_lo, 0, v49, vcc_lo
	s_mov_b32 s10, exec_lo
	s_delay_alu instid0(VALU_DEP_1)
	v_cmpx_lt_u64_e64 v[14:15], v[10:11]
	s_cbranch_execz .LBB10_260
; %bb.247:                              ;   in Loop: Header=BB10_70 Depth=1
	s_sleep 1
	flat_load_b64 v[48:49], v[38:39] glc
	v_cmp_eq_u32_e32 vcc_lo, 0, v119
	s_and_saveexec_b32 s19, vcc_lo
	s_cbranch_execz .LBB10_259
; %bb.248:                              ;   in Loop: Header=BB10_70 Depth=1
	v_cndmask_b32_e64 v9, 0, 1, vcc_lo
	s_mov_b32 s20, 0
                                        ; implicit-def: $sgpr21
	s_branch .LBB10_252
.LBB10_249:                             ;   in Loop: Header=BB10_252 Depth=2
	s_or_b32 exec_lo, exec_lo, s24
	s_delay_alu instid0(SALU_CYCLE_1)
	s_or_not1_b32 s24, s25, exec_lo
.LBB10_250:                             ;   in Loop: Header=BB10_252 Depth=2
	s_or_b32 exec_lo, exec_lo, s23
	s_xor_b32 s23, s24, -1
	s_and_not1_b32 s21, s21, exec_lo
	s_and_b32 s23, s23, exec_lo
	s_delay_alu instid0(SALU_CYCLE_1)
	s_or_b32 s21, s21, s23
.LBB10_251:                             ;   in Loop: Header=BB10_252 Depth=2
	s_or_b32 exec_lo, exec_lo, s22
	s_delay_alu instid0(SALU_CYCLE_1) | instskip(NEXT) | instid1(SALU_CYCLE_1)
	s_and_b32 s22, exec_lo, s21
	s_or_b32 s20, s22, s20
	s_delay_alu instid0(SALU_CYCLE_1)
	s_and_not1_b32 exec_lo, exec_lo, s20
	s_cbranch_execz .LBB10_258
.LBB10_252:                             ;   Parent Loop BB10_70 Depth=1
                                        ; =>  This Inner Loop Header: Depth=2
	s_waitcnt vmcnt(0) lgkmcnt(0)
	v_add_co_u32 v14, vcc_lo, v48, 8
	v_add_co_ci_u32_e32 v15, vcc_lo, 0, v49, vcc_lo
	v_mov_b32_e32 v119, 0
	s_or_b32 s21, s21, exec_lo
	s_mov_b32 s22, exec_lo
	s_delay_alu instid0(VALU_DEP_2)
	v_cmpx_lt_u64_e64 v[14:15], v[10:11]
	s_cbranch_execz .LBB10_251
; %bb.253:                              ;   in Loop: Header=BB10_252 Depth=2
	s_sleep 1
	flat_load_b64 v[48:49], v[38:39] glc
	v_add_nc_u32_e32 v9, 1, v9
	v_mov_b32_e32 v119, 0
	s_mov_b32 s24, -1
	s_mov_b32 s23, exec_lo
	s_delay_alu instid0(VALU_DEP_2)
	v_cmpx_eq_u32_e32 0x2710, v9
	s_cbranch_execz .LBB10_250
; %bb.254:                              ;   in Loop: Header=BB10_252 Depth=2
	s_cbranch_execnz .LBB10_390
; %bb.255:                              ;   in Loop: Header=BB10_252 Depth=2
	ds_load_b64 v[14:15], v0
	v_mov_b32_e32 v9, 0
	v_mov_b32_e32 v119, 0
	s_mov_b32 s25, -1
	s_mov_b32 s24, exec_lo
	s_waitcnt vmcnt(0) lgkmcnt(0)
	s_waitcnt_vscnt null, 0x0
	flat_load_b32 v14, v[14:15] glc
	s_waitcnt vmcnt(0) lgkmcnt(0)
	buffer_gl1_inv
	buffer_gl0_inv
	v_cmpx_ne_u32_e32 0, v14
	s_cbranch_execz .LBB10_249
; %bb.256:                              ;   in Loop: Header=BB10_252 Depth=2
	ds_store_b32 v0, v14
	s_cbranch_execnz .LBB10_425
; %bb.257:                              ;   in Loop: Header=BB10_252 Depth=2
	v_mov_b32_e32 v119, 1
	s_xor_b32 s25, exec_lo, -1
	s_branch .LBB10_249
.LBB10_258:                             ;   in Loop: Header=BB10_70 Depth=1
	s_or_b32 exec_lo, exec_lo, s20
.LBB10_259:                             ;   in Loop: Header=BB10_70 Depth=1
	s_delay_alu instid0(SALU_CYCLE_1)
	s_or_b32 exec_lo, exec_lo, s19
.LBB10_260:                             ;   in Loop: Header=BB10_70 Depth=1
	s_delay_alu instid0(SALU_CYCLE_1)
	s_or_b32 exec_lo, exec_lo, s10
	s_and_saveexec_b32 s10, s4
	s_cbranch_execz .LBB10_262
; %bb.261:                              ;   in Loop: Header=BB10_70 Depth=1
	v_and_b32_e32 v52, 0x7ffffff8, v8
	v_and_b32_e32 v15, 7, v8
	s_delay_alu instid0(VALU_DEP_2) | instskip(SKIP_1) | instid1(VALU_DEP_3)
	v_cmp_eq_u64_e32 vcc_lo, 0x7ffffff8, v[52:53]
	v_cndmask_b32_e64 v9, v13, s14, vcc_lo
	v_mad_u64_u32 v[13:14], null, v15, 24, v[6:7]
	s_delay_alu instid0(VALU_DEP_2) | instskip(NEXT) | instid1(VALU_DEP_1)
	v_lshlrev_b32_e32 v8, 4, v9
	v_ashrrev_i32_e32 v9, 31, v8
	flat_store_b64 v[13:14], v[8:9] offset:8 dlc
	s_waitcnt_vscnt null, 0x0
.LBB10_262:                             ;   in Loop: Header=BB10_70 Depth=1
	s_or_b32 exec_lo, exec_lo, s10
	v_dual_mov_b32 v8, v10 :: v_dual_mov_b32 v9, v11
.LBB10_263:                             ;   in Loop: Header=BB10_70 Depth=1
	s_or_b32 exec_lo, exec_lo, s9
	s_and_saveexec_b32 s9, s5
	s_cbranch_execz .LBB10_285
; %bb.264:                              ;   in Loop: Header=BB10_70 Depth=1
	s_and_saveexec_b32 s10, s6
	s_delay_alu instid0(SALU_CYCLE_1)
	s_xor_b32 s10, exec_lo, s10
	s_cbranch_execz .LBB10_282
; %bb.265:                              ;   in Loop: Header=BB10_70 Depth=1
	s_and_saveexec_b32 s19, s7
	s_cbranch_execz .LBB10_281
; %bb.266:                              ;   in Loop: Header=BB10_70 Depth=1
	s_mov_b32 s21, exec_lo
	s_mov_b32 s20, exec_lo
	v_mbcnt_lo_u32_b32 v10, s21, 0
	s_waitcnt vmcnt(0) lgkmcnt(0)
	s_waitcnt_vscnt null, 0x0
	buffer_gl1_inv
	buffer_gl0_inv
	v_cmpx_eq_u32_e32 0, v10
	s_cbranch_execz .LBB10_268
; %bb.267:                              ;   in Loop: Header=BB10_70 Depth=1
	s_bcnt1_i32_b32 s21, s21
	s_delay_alu instid0(SALU_CYCLE_1)
	v_mov_b32_e32 v52, s21
	ds_add_u64 v0, v[52:53]
	s_cbranch_execnz .LBB10_415
.LBB10_268:                             ;   in Loop: Header=BB10_70 Depth=1
	s_or_b32 exec_lo, exec_lo, s20
	s_cbranch_execnz .LBB10_407
; %bb.269:                              ;   in Loop: Header=BB10_70 Depth=1
	ds_load_b64 v[10:11], v0
	v_add_co_u32 v50, vcc_lo, v50, v99
	v_add_co_ci_u32_e32 v51, vcc_lo, v51, v101, vcc_lo
	s_mov_b32 s20, exec_lo
	s_waitcnt lgkmcnt(0)
	s_delay_alu instid0(VALU_DEP_1)
	v_cmpx_lt_u64_e64 v[10:11], v[50:51]
	s_cbranch_execz .LBB10_280
; %bb.270:                              ;   in Loop: Header=BB10_70 Depth=1
	s_mov_b32 s21, 0
	s_mov_b32 s24, 0
                                        ; implicit-def: $sgpr22
                                        ; implicit-def: $sgpr23
	s_branch .LBB10_272
.LBB10_271:                             ;   in Loop: Header=BB10_272 Depth=2
	s_or_b32 exec_lo, exec_lo, s27
	s_delay_alu instid0(SALU_CYCLE_1) | instskip(NEXT) | instid1(SALU_CYCLE_1)
	s_and_b32 s25, exec_lo, s26
	s_or_b32 s21, s25, s21
	s_and_not1_b32 s22, s22, exec_lo
	s_and_b32 s25, s23, exec_lo
	s_delay_alu instid0(SALU_CYCLE_1)
	s_or_b32 s22, s22, s25
	s_and_not1_b32 exec_lo, exec_lo, s21
	s_cbranch_execz .LBB10_278
.LBB10_272:                             ;   Parent Loop BB10_70 Depth=1
                                        ; =>  This Inner Loop Header: Depth=2
	s_add_i32 s24, s24, 1
                                        ; implicit-def: $sgpr26
	s_delay_alu instid0(SALU_CYCLE_1) | instskip(SKIP_1) | instid1(SALU_CYCLE_1)
	s_cmpk_lg_i32 s24, 0x2710
	s_cselect_b32 s25, -1, 0
	s_and_b32 vcc_lo, exec_lo, s25
	s_cbranch_vccz .LBB10_276
.LBB10_273:                             ;   in Loop: Header=BB10_272 Depth=2
	s_and_not1_b32 s23, s23, exec_lo
	s_and_b32 s27, s26, exec_lo
	s_mov_b32 s26, -1
	s_or_b32 s23, s23, s27
	s_and_saveexec_b32 s27, s25
	s_cbranch_execz .LBB10_271
; %bb.274:                              ;   in Loop: Header=BB10_272 Depth=2
	s_sleep 1
	s_cbranch_execnz .LBB10_439
; %bb.275:                              ;   in Loop: Header=BB10_272 Depth=2
	ds_load_b64 v[10:11], v0
	s_and_not1_b32 s23, s23, exec_lo
	s_waitcnt lgkmcnt(0)
	v_cmp_ge_u64_e32 vcc_lo, v[10:11], v[50:51]
	s_or_not1_b32 s26, vcc_lo, exec_lo
	s_branch .LBB10_271
.LBB10_276:                             ;   in Loop: Header=BB10_272 Depth=2
	s_cbranch_execnz .LBB10_443
; %bb.277:                              ;   in Loop: Header=BB10_272 Depth=2
	ds_load_b64 v[10:11], v0
	s_and_not1_b32 s25, s25, exec_lo
	s_mov_b32 s24, 0
	s_mov_b32 s26, -1
	s_waitcnt lgkmcnt(0)
	flat_load_b32 v10, v[10:11] glc
	s_waitcnt vmcnt(0) lgkmcnt(0)
	buffer_gl1_inv
	buffer_gl0_inv
	v_cmp_eq_u32_e32 vcc_lo, 0, v10
	s_and_b32 s27, vcc_lo, exec_lo
	s_delay_alu instid0(SALU_CYCLE_1)
	s_or_b32 s25, s25, s27
	s_branch .LBB10_273
.LBB10_278:                             ;   in Loop: Header=BB10_70 Depth=1
	s_or_b32 exec_lo, exec_lo, s21
	s_and_saveexec_b32 s21, s22
	s_delay_alu instid0(SALU_CYCLE_1)
	s_xor_b32 s21, exec_lo, s21
	s_cbranch_execz .LBB10_280
; %bb.279:                              ;   in Loop: Header=BB10_70 Depth=1
	ds_store_b32 v0, v118
	s_cbranch_execnz .LBB10_467
.LBB10_280:                             ;   in Loop: Header=BB10_70 Depth=1
	s_or_b32 exec_lo, exec_lo, s20
	;;#ASMSTART
	s_wakeup
	;;#ASMEND
.LBB10_281:                             ;   in Loop: Header=BB10_70 Depth=1
	s_or_b32 exec_lo, exec_lo, s19
.LBB10_282:                             ;   in Loop: Header=BB10_70 Depth=1
	s_and_not1_saveexec_b32 s10, s10
	s_cbranch_execz .LBB10_284
; %bb.283:                              ;   in Loop: Header=BB10_70 Depth=1
	s_waitcnt vmcnt(0) lgkmcnt(0)
	s_waitcnt_vscnt null, 0x0
	buffer_gl1_inv
	buffer_gl0_inv
	s_barrier
.LBB10_284:                             ;   in Loop: Header=BB10_70 Depth=1
	s_or_b32 exec_lo, exec_lo, s10
.LBB10_285:                             ;   in Loop: Header=BB10_70 Depth=1
	s_delay_alu instid0(SALU_CYCLE_1) | instskip(SKIP_3) | instid1(VALU_DEP_2)
	s_or_b32 exec_lo, exec_lo, s9
	v_sub_nc_u32_e32 v17, v12, v100
	v_mov_b32_e32 v14, v0
	s_mov_b32 s19, exec_lo
	v_cmpx_lt_i32_e32 0, v17
	s_cbranch_execz .LBB10_311
; %bb.286:                              ;   in Loop: Header=BB10_70 Depth=1
	v_dual_mov_b32 v15, v70 :: v_dual_and_b32 v10, 7, v34
	v_dual_mov_b32 v14, v34 :: v_dual_mov_b32 v83, v65
	v_add_co_u32 v96, vcc_lo, 0, 0
	s_delay_alu instid0(VALU_DEP_3) | instskip(SKIP_4) | instid1(VALU_DEP_4)
	v_mul_lo_u32 v10, v10, s14
	v_mov_b32_e32 v16, v71
	v_mov_b32_e32 v52, v3
	v_mov_b32_e32 v82, v64
	s_mov_b32 s20, 0
	v_ashrrev_i32_e32 v11, 31, v10
	s_delay_alu instid0(VALU_DEP_1) | instskip(SKIP_2) | instid1(VALU_DEP_3)
	v_lshlrev_b64 v[12:13], 4, v[10:11]
	v_add_co_ci_u32_e32 v11, vcc_lo, 1, v14, vcc_lo
	v_mov_b32_e32 v14, v0
	v_add_co_u32 v84, vcc_lo, v1, v12
	s_delay_alu instid0(VALU_DEP_4)
	v_add_co_ci_u32_e32 v85, vcc_lo, v117, v13, vcc_lo
	s_branch .LBB10_288
.LBB10_287:                             ;   in Loop: Header=BB10_288 Depth=2
	v_add_co_u32 v82, vcc_lo, v82, v102
	v_sub_nc_u32_e32 v17, v17, v102
	v_add_co_ci_u32_e32 v83, vcc_lo, v83, v114, vcc_lo
	v_add_co_u32 v15, vcc_lo, v15, v102
	v_add_co_ci_u32_e32 v16, vcc_lo, v16, v114, vcc_lo
	s_delay_alu instid0(VALU_DEP_4)
	v_cmp_gt_i32_e32 vcc_lo, 1, v17
	v_add_co_u32 v84, s9, v84, v68
	v_add_nc_u32_e32 v14, v14, v2
	v_add_nc_u32_e32 v52, v52, v116
	v_add_co_ci_u32_e64 v85, s9, v85, v69, s9
	s_or_b32 s20, vcc_lo, s20
	s_delay_alu instid0(SALU_CYCLE_1)
	s_and_not1_b32 exec_lo, exec_lo, s20
	s_cbranch_execz .LBB10_310
.LBB10_288:                             ;   Parent Loop BB10_70 Depth=1
                                        ; =>  This Inner Loop Header: Depth=2
	v_add_co_u32 v86, vcc_lo, v100, v82
	v_add_co_ci_u32_e32 v13, vcc_lo, v103, v83, vcc_lo
	v_min_u32_e32 v87, 8, v17
	s_delay_alu instid0(VALU_DEP_3) | instskip(SKIP_4) | instid1(VALU_DEP_1)
	v_dual_mov_b32 v97, 0 :: v_dual_and_b32 v12, -4, v86
	v_and_b32_e32 v86, 3, v86
	v_mov_b32_e32 v128, 0
	flat_load_b32 v10, v[12:13] glc
	v_add_co_u32 v86, s9, v86, v87
	v_add_co_ci_u32_e64 v87, null, 0, 0, s9
	s_mov_b32 s9, exec_lo
	s_delay_alu instid0(VALU_DEP_1)
	v_cmpx_lt_u64_e32 4, v[86:87]
	s_cbranch_execz .LBB10_290
; %bb.289:                              ;   in Loop: Header=BB10_288 Depth=2
	flat_load_b32 v128, v[12:13] offset:4 glc
.LBB10_290:                             ;   in Loop: Header=BB10_288 Depth=2
	s_or_b32 exec_lo, exec_lo, s9
	s_delay_alu instid0(SALU_CYCLE_1)
	s_mov_b32 s9, exec_lo
	v_cmpx_lt_u64_e32 8, v[86:87]
	s_cbranch_execz .LBB10_292
; %bb.291:                              ;   in Loop: Header=BB10_288 Depth=2
	flat_load_b32 v97, v[12:13] offset:8 glc
.LBB10_292:                             ;   in Loop: Header=BB10_288 Depth=2
	s_or_b32 exec_lo, exec_lo, s9
	s_waitcnt vmcnt(0) lgkmcnt(0)
	v_alignbit_b32 v86, v128, v10, v52
	v_alignbit_b32 v87, v97, v128, v52
	v_cmp_lt_u32_e32 vcc_lo, 7, v17
	v_mov_b32_e32 v13, v11
	s_delay_alu instid0(VALU_DEP_4) | instskip(NEXT) | instid1(VALU_DEP_4)
	v_or_b32_e32 v10, v96, v86
	v_or_b32_e32 v12, v96, v87
	v_cndmask_b32_e64 v97, 0, 1, vcc_lo
	global_store_b128 v[84:85], v[10:13], off
	;;#ASMSTART
	;;#ASMEND
	v_cmp_ne_u32_e64 s9, 0, v97
	v_add_co_u32 v12, s10, v15, v100
	s_delay_alu instid0(VALU_DEP_1) | instskip(NEXT) | instid1(VALU_DEP_3)
	v_add_co_ci_u32_e64 v13, s10, v16, v103, s10
	s_cmp_lg_u32 s9, exec_lo
	s_mov_b32 s9, -1
	s_cbranch_scc0 .LBB10_308
; %bb.293:                              ;   in Loop: Header=BB10_288 Depth=2
	s_mov_b32 s10, exec_lo
	flat_store_b8 v[12:13], v86
	v_cmpx_ne_u32_e32 1, v17
	s_cbranch_execz .LBB10_295
; %bb.294:                              ;   in Loop: Header=BB10_288 Depth=2
	v_lshrrev_b32_e32 v10, 8, v86
	flat_store_b8 v[12:13], v10 offset:1
.LBB10_295:                             ;   in Loop: Header=BB10_288 Depth=2
	s_or_b32 exec_lo, exec_lo, s10
	s_delay_alu instid0(SALU_CYCLE_1)
	s_mov_b32 s10, exec_lo
	v_cmpx_lt_u32_e32 2, v17
	s_cbranch_execz .LBB10_297
; %bb.296:                              ;   in Loop: Header=BB10_288 Depth=2
	flat_store_d16_hi_b8 v[12:13], v86 offset:2
.LBB10_297:                             ;   in Loop: Header=BB10_288 Depth=2
	s_or_b32 exec_lo, exec_lo, s10
	s_delay_alu instid0(SALU_CYCLE_1)
	s_mov_b32 s10, exec_lo
	v_cmpx_lt_u32_e32 3, v17
	s_cbranch_execz .LBB10_299
; %bb.298:                              ;   in Loop: Header=BB10_288 Depth=2
	v_lshrrev_b32_e32 v10, 24, v86
	flat_store_b8 v[12:13], v10 offset:3
.LBB10_299:                             ;   in Loop: Header=BB10_288 Depth=2
	s_or_b32 exec_lo, exec_lo, s10
	s_delay_alu instid0(SALU_CYCLE_1)
	s_mov_b32 s10, exec_lo
	v_cmpx_lt_u32_e32 4, v17
	s_cbranch_execz .LBB10_301
; %bb.300:                              ;   in Loop: Header=BB10_288 Depth=2
	flat_store_b8 v[12:13], v87 offset:4
.LBB10_301:                             ;   in Loop: Header=BB10_288 Depth=2
	s_or_b32 exec_lo, exec_lo, s10
	s_delay_alu instid0(SALU_CYCLE_1)
	s_mov_b32 s10, exec_lo
	v_cmpx_lt_u32_e32 5, v17
	s_cbranch_execz .LBB10_303
; %bb.302:                              ;   in Loop: Header=BB10_288 Depth=2
	v_lshrrev_b32_e32 v10, 8, v87
	flat_store_b8 v[12:13], v10 offset:5
.LBB10_303:                             ;   in Loop: Header=BB10_288 Depth=2
	s_or_b32 exec_lo, exec_lo, s10
	s_delay_alu instid0(SALU_CYCLE_1)
	s_mov_b32 s10, exec_lo
	v_cmpx_lt_u32_e32 6, v17
	s_cbranch_execz .LBB10_305
; %bb.304:                              ;   in Loop: Header=BB10_288 Depth=2
	flat_store_d16_hi_b8 v[12:13], v87 offset:6
.LBB10_305:                             ;   in Loop: Header=BB10_288 Depth=2
	s_or_b32 exec_lo, exec_lo, s10
	s_and_saveexec_b32 s9, vcc_lo
	s_cbranch_execz .LBB10_307
; %bb.306:                              ;   in Loop: Header=BB10_288 Depth=2
	v_lshrrev_b32_e32 v10, 24, v87
	flat_store_b8 v[12:13], v10 offset:7
.LBB10_307:                             ;   in Loop: Header=BB10_288 Depth=2
	s_or_b32 exec_lo, exec_lo, s9
	s_mov_b32 s9, 0
.LBB10_308:                             ;   in Loop: Header=BB10_288 Depth=2
	s_delay_alu instid0(SALU_CYCLE_1)
	s_and_b32 vcc_lo, exec_lo, s9
	s_cbranch_vccz .LBB10_287
; %bb.309:                              ;   in Loop: Header=BB10_288 Depth=2
	global_store_b64 v[12:13], v[86:87], off
	s_branch .LBB10_287
.LBB10_310:                             ;   in Loop: Header=BB10_70 Depth=1
	s_or_b32 exec_lo, exec_lo, s20
.LBB10_311:                             ;   in Loop: Header=BB10_70 Depth=1
	s_delay_alu instid0(SALU_CYCLE_1) | instskip(SKIP_2) | instid1(VALU_DEP_2)
	s_or_b32 exec_lo, exec_lo, s19
	v_and_b32_e32 v52, 0x7ffffff8, v34
	v_cmp_gt_i32_e64 s9, s14, v14
	v_cmp_eq_u64_e32 vcc_lo, 0x7ffffff8, v[52:53]
	s_delay_alu instid0(VALU_DEP_2) | instskip(NEXT) | instid1(SALU_CYCLE_1)
	s_and_b32 s9, vcc_lo, s9
	s_and_saveexec_b32 s10, s9
	s_cbranch_execz .LBB10_314
; %bb.312:                              ;   in Loop: Header=BB10_70 Depth=1
	v_and_b32_e32 v10, 7, v34
	v_ashrrev_i32_e32 v15, 31, v14
	s_mov_b32 s19, 0
	s_delay_alu instid0(VALU_DEP_1) | instskip(SKIP_2) | instid1(VALU_DEP_1)
	v_lshlrev_b64 v[12:13], 4, v[14:15]
	v_mov_b32_e32 v15, v34
	v_mul_lo_u32 v10, v10, s14
	v_ashrrev_i32_e32 v11, 31, v10
	s_delay_alu instid0(VALU_DEP_1) | instskip(NEXT) | instid1(VALU_DEP_1)
	v_lshlrev_b64 v[10:11], 4, v[10:11]
	v_add_co_u32 v12, vcc_lo, v12, v10
	s_delay_alu instid0(VALU_DEP_2) | instskip(SKIP_2) | instid1(VALU_DEP_4)
	v_add_co_ci_u32_e32 v13, vcc_lo, v13, v11, vcc_lo
	v_add_co_u32 v10, vcc_lo, 0, 0
	v_add_co_ci_u32_e32 v11, vcc_lo, 1, v15, vcc_lo
	v_add_co_u32 v15, vcc_lo, v32, v12
	s_delay_alu instid0(VALU_DEP_4)
	v_add_co_ci_u32_e32 v16, vcc_lo, v33, v13, vcc_lo
.LBB10_313:                             ;   Parent Loop BB10_70 Depth=1
                                        ; =>  This Inner Loop Header: Depth=2
	s_delay_alu instid0(VALU_DEP_3) | instskip(SKIP_4) | instid1(VALU_DEP_1)
	v_dual_mov_b32 v12, v10 :: v_dual_mov_b32 v13, v11
	v_add_nc_u32_e32 v14, v14, v2
	global_store_b128 v[15:16], v[10:13], off
	v_cmp_le_i32_e32 vcc_lo, s14, v14
	v_add_co_u32 v15, s9, v15, v68
	v_add_co_ci_u32_e64 v16, s9, v16, v69, s9
	s_or_b32 s19, vcc_lo, s19
	s_delay_alu instid0(SALU_CYCLE_1)
	s_and_not1_b32 exec_lo, exec_lo, s19
	s_cbranch_execnz .LBB10_313
.LBB10_314:                             ;   in Loop: Header=BB10_70 Depth=1
	s_or_b32 exec_lo, exec_lo, s10
	v_add_co_u32 v34, vcc_lo, v34, 1
	v_add_co_ci_u32_e32 v35, vcc_lo, 0, v35, vcc_lo
                                        ; implicit-def: $vgpr13
                                        ; implicit-def: $vgpr12
.LBB10_315:                             ;   in Loop: Header=BB10_70 Depth=1
	s_and_not1_saveexec_b32 s10, s18
	s_cbranch_execz .LBB10_68
; %bb.316:                              ;   in Loop: Header=BB10_70 Depth=1
	s_and_saveexec_b32 s9, s3
	s_cbranch_execz .LBB10_334
; %bb.317:                              ;   in Loop: Header=BB10_70 Depth=1
	v_add_co_u32 v10, vcc_lo, v8, 1
	v_add_co_ci_u32_e32 v11, vcc_lo, 0, v9, vcc_lo
	s_waitcnt vmcnt(0) lgkmcnt(0)
	v_add_co_u32 v14, vcc_lo, v48, 8
	v_add_co_ci_u32_e32 v15, vcc_lo, 0, v49, vcc_lo
	s_mov_b32 s18, exec_lo
	s_delay_alu instid0(VALU_DEP_1)
	v_cmpx_lt_u64_e64 v[14:15], v[10:11]
	s_cbranch_execz .LBB10_331
; %bb.318:                              ;   in Loop: Header=BB10_70 Depth=1
	s_sleep 1
	flat_load_b64 v[48:49], v[38:39] glc
	v_cmp_eq_u32_e32 vcc_lo, 0, v119
	s_and_saveexec_b32 s19, vcc_lo
	s_cbranch_execz .LBB10_330
; %bb.319:                              ;   in Loop: Header=BB10_70 Depth=1
	v_cndmask_b32_e64 v9, 0, 1, vcc_lo
	s_mov_b32 s20, 0
                                        ; implicit-def: $sgpr21
	s_branch .LBB10_323
.LBB10_320:                             ;   in Loop: Header=BB10_323 Depth=2
	s_or_b32 exec_lo, exec_lo, s24
	s_delay_alu instid0(SALU_CYCLE_1)
	s_or_not1_b32 s24, s25, exec_lo
.LBB10_321:                             ;   in Loop: Header=BB10_323 Depth=2
	s_or_b32 exec_lo, exec_lo, s23
	s_xor_b32 s23, s24, -1
	s_and_not1_b32 s21, s21, exec_lo
	s_and_b32 s23, s23, exec_lo
	s_delay_alu instid0(SALU_CYCLE_1)
	s_or_b32 s21, s21, s23
.LBB10_322:                             ;   in Loop: Header=BB10_323 Depth=2
	s_or_b32 exec_lo, exec_lo, s22
	s_delay_alu instid0(SALU_CYCLE_1) | instskip(NEXT) | instid1(SALU_CYCLE_1)
	s_and_b32 s22, exec_lo, s21
	s_or_b32 s20, s22, s20
	s_delay_alu instid0(SALU_CYCLE_1)
	s_and_not1_b32 exec_lo, exec_lo, s20
	s_cbranch_execz .LBB10_329
.LBB10_323:                             ;   Parent Loop BB10_70 Depth=1
                                        ; =>  This Inner Loop Header: Depth=2
	s_waitcnt vmcnt(0) lgkmcnt(0)
	v_add_co_u32 v14, vcc_lo, v48, 8
	v_add_co_ci_u32_e32 v15, vcc_lo, 0, v49, vcc_lo
	v_mov_b32_e32 v119, 0
	s_or_b32 s21, s21, exec_lo
	s_mov_b32 s22, exec_lo
	s_delay_alu instid0(VALU_DEP_2)
	v_cmpx_lt_u64_e64 v[14:15], v[10:11]
	s_cbranch_execz .LBB10_322
; %bb.324:                              ;   in Loop: Header=BB10_323 Depth=2
	s_sleep 1
	flat_load_b64 v[48:49], v[38:39] glc
	v_add_nc_u32_e32 v9, 1, v9
	v_mov_b32_e32 v119, 0
	s_mov_b32 s24, -1
	s_mov_b32 s23, exec_lo
	s_delay_alu instid0(VALU_DEP_2)
	v_cmpx_eq_u32_e32 0x2710, v9
	s_cbranch_execz .LBB10_321
; %bb.325:                              ;   in Loop: Header=BB10_323 Depth=2
	s_cbranch_execnz .LBB10_394
; %bb.326:                              ;   in Loop: Header=BB10_323 Depth=2
	ds_load_b64 v[14:15], v0
	v_mov_b32_e32 v9, 0
	v_mov_b32_e32 v119, 0
	s_mov_b32 s25, -1
	s_mov_b32 s24, exec_lo
	s_waitcnt vmcnt(0) lgkmcnt(0)
	s_waitcnt_vscnt null, 0x0
	flat_load_b32 v14, v[14:15] glc
	s_waitcnt vmcnt(0) lgkmcnt(0)
	buffer_gl1_inv
	buffer_gl0_inv
	v_cmpx_ne_u32_e32 0, v14
	s_cbranch_execz .LBB10_320
; %bb.327:                              ;   in Loop: Header=BB10_323 Depth=2
	ds_store_b32 v0, v14
	s_cbranch_execnz .LBB10_427
; %bb.328:                              ;   in Loop: Header=BB10_323 Depth=2
	v_mov_b32_e32 v119, 1
	s_xor_b32 s25, exec_lo, -1
	s_branch .LBB10_320
.LBB10_329:                             ;   in Loop: Header=BB10_70 Depth=1
	s_or_b32 exec_lo, exec_lo, s20
.LBB10_330:                             ;   in Loop: Header=BB10_70 Depth=1
	s_delay_alu instid0(SALU_CYCLE_1)
	s_or_b32 exec_lo, exec_lo, s19
.LBB10_331:                             ;   in Loop: Header=BB10_70 Depth=1
	s_delay_alu instid0(SALU_CYCLE_1)
	s_or_b32 exec_lo, exec_lo, s18
	s_and_saveexec_b32 s18, s4
	s_cbranch_execz .LBB10_333
; %bb.332:                              ;   in Loop: Header=BB10_70 Depth=1
	v_and_b32_e32 v52, 0x7ffffff8, v8
	v_and_b32_e32 v15, 7, v8
	s_delay_alu instid0(VALU_DEP_2) | instskip(SKIP_1) | instid1(VALU_DEP_3)
	v_cmp_eq_u64_e32 vcc_lo, 0x7ffffff8, v[52:53]
	v_cndmask_b32_e64 v9, v13, s14, vcc_lo
	v_mad_u64_u32 v[13:14], null, v15, 24, v[6:7]
	s_delay_alu instid0(VALU_DEP_2) | instskip(NEXT) | instid1(VALU_DEP_1)
	v_lshlrev_b32_e32 v8, 4, v9
	v_ashrrev_i32_e32 v9, 31, v8
	flat_store_b64 v[13:14], v[8:9] offset:8 dlc
	s_waitcnt_vscnt null, 0x0
.LBB10_333:                             ;   in Loop: Header=BB10_70 Depth=1
	s_or_b32 exec_lo, exec_lo, s18
	v_dual_mov_b32 v8, v10 :: v_dual_mov_b32 v9, v11
.LBB10_334:                             ;   in Loop: Header=BB10_70 Depth=1
	s_or_b32 exec_lo, exec_lo, s9
	s_and_saveexec_b32 s9, s5
	s_cbranch_execz .LBB10_356
; %bb.335:                              ;   in Loop: Header=BB10_70 Depth=1
	s_and_saveexec_b32 s18, s6
	s_delay_alu instid0(SALU_CYCLE_1)
	s_xor_b32 s18, exec_lo, s18
	s_cbranch_execz .LBB10_353
; %bb.336:                              ;   in Loop: Header=BB10_70 Depth=1
	s_and_saveexec_b32 s19, s7
	s_cbranch_execz .LBB10_352
; %bb.337:                              ;   in Loop: Header=BB10_70 Depth=1
	s_mov_b32 s21, exec_lo
	s_mov_b32 s20, exec_lo
	v_mbcnt_lo_u32_b32 v10, s21, 0
	s_waitcnt vmcnt(0) lgkmcnt(0)
	s_waitcnt_vscnt null, 0x0
	buffer_gl1_inv
	buffer_gl0_inv
	v_cmpx_eq_u32_e32 0, v10
	s_cbranch_execz .LBB10_339
; %bb.338:                              ;   in Loop: Header=BB10_70 Depth=1
	s_bcnt1_i32_b32 s21, s21
	s_delay_alu instid0(SALU_CYCLE_1)
	v_mov_b32_e32 v52, s21
	ds_add_u64 v0, v[52:53]
	s_cbranch_execnz .LBB10_419
.LBB10_339:                             ;   in Loop: Header=BB10_70 Depth=1
	s_or_b32 exec_lo, exec_lo, s20
	s_cbranch_execnz .LBB10_409
; %bb.340:                              ;   in Loop: Header=BB10_70 Depth=1
	ds_load_b64 v[10:11], v0
	v_add_co_u32 v50, vcc_lo, v50, v99
	v_add_co_ci_u32_e32 v51, vcc_lo, v51, v101, vcc_lo
	s_mov_b32 s20, exec_lo
	s_waitcnt lgkmcnt(0)
	s_delay_alu instid0(VALU_DEP_1)
	v_cmpx_lt_u64_e64 v[10:11], v[50:51]
	s_cbranch_execz .LBB10_351
; %bb.341:                              ;   in Loop: Header=BB10_70 Depth=1
	s_mov_b32 s21, 0
	s_mov_b32 s24, 0
                                        ; implicit-def: $sgpr22
                                        ; implicit-def: $sgpr23
	s_branch .LBB10_343
.LBB10_342:                             ;   in Loop: Header=BB10_343 Depth=2
	s_or_b32 exec_lo, exec_lo, s27
	s_delay_alu instid0(SALU_CYCLE_1) | instskip(NEXT) | instid1(SALU_CYCLE_1)
	s_and_b32 s25, exec_lo, s26
	s_or_b32 s21, s25, s21
	s_and_not1_b32 s22, s22, exec_lo
	s_and_b32 s25, s23, exec_lo
	s_delay_alu instid0(SALU_CYCLE_1)
	s_or_b32 s22, s22, s25
	s_and_not1_b32 exec_lo, exec_lo, s21
	s_cbranch_execz .LBB10_349
.LBB10_343:                             ;   Parent Loop BB10_70 Depth=1
                                        ; =>  This Inner Loop Header: Depth=2
	s_add_i32 s24, s24, 1
                                        ; implicit-def: $sgpr26
	s_delay_alu instid0(SALU_CYCLE_1) | instskip(SKIP_1) | instid1(SALU_CYCLE_1)
	s_cmpk_lg_i32 s24, 0x2710
	s_cselect_b32 s25, -1, 0
	s_and_b32 vcc_lo, exec_lo, s25
	s_cbranch_vccz .LBB10_347
.LBB10_344:                             ;   in Loop: Header=BB10_343 Depth=2
	s_and_not1_b32 s23, s23, exec_lo
	s_and_b32 s27, s26, exec_lo
	s_mov_b32 s26, -1
	s_or_b32 s23, s23, s27
	s_and_saveexec_b32 s27, s25
	s_cbranch_execz .LBB10_342
; %bb.345:                              ;   in Loop: Header=BB10_343 Depth=2
	s_sleep 1
	s_cbranch_execnz .LBB10_441
; %bb.346:                              ;   in Loop: Header=BB10_343 Depth=2
	ds_load_b64 v[10:11], v0
	s_and_not1_b32 s23, s23, exec_lo
	s_waitcnt lgkmcnt(0)
	v_cmp_ge_u64_e32 vcc_lo, v[10:11], v[50:51]
	s_or_not1_b32 s26, vcc_lo, exec_lo
	s_branch .LBB10_342
.LBB10_347:                             ;   in Loop: Header=BB10_343 Depth=2
	s_cbranch_execnz .LBB10_445
; %bb.348:                              ;   in Loop: Header=BB10_343 Depth=2
	ds_load_b64 v[10:11], v0
	s_and_not1_b32 s25, s25, exec_lo
	s_mov_b32 s24, 0
	s_mov_b32 s26, -1
	s_waitcnt lgkmcnt(0)
	flat_load_b32 v10, v[10:11] glc
	s_waitcnt vmcnt(0) lgkmcnt(0)
	buffer_gl1_inv
	buffer_gl0_inv
	v_cmp_eq_u32_e32 vcc_lo, 0, v10
	s_and_b32 s27, vcc_lo, exec_lo
	s_delay_alu instid0(SALU_CYCLE_1)
	s_or_b32 s25, s25, s27
	s_branch .LBB10_344
.LBB10_349:                             ;   in Loop: Header=BB10_70 Depth=1
	s_or_b32 exec_lo, exec_lo, s21
	s_and_saveexec_b32 s21, s22
	s_delay_alu instid0(SALU_CYCLE_1)
	s_xor_b32 s21, exec_lo, s21
	s_cbranch_execz .LBB10_351
; %bb.350:                              ;   in Loop: Header=BB10_70 Depth=1
	ds_store_b32 v0, v118
	s_cbranch_execnz .LBB10_469
.LBB10_351:                             ;   in Loop: Header=BB10_70 Depth=1
	s_or_b32 exec_lo, exec_lo, s20
	;;#ASMSTART
	s_wakeup
	;;#ASMEND
.LBB10_352:                             ;   in Loop: Header=BB10_70 Depth=1
	s_or_b32 exec_lo, exec_lo, s19
.LBB10_353:                             ;   in Loop: Header=BB10_70 Depth=1
	s_and_not1_saveexec_b32 s18, s18
	s_cbranch_execz .LBB10_355
; %bb.354:                              ;   in Loop: Header=BB10_70 Depth=1
	s_waitcnt vmcnt(0) lgkmcnt(0)
	s_waitcnt_vscnt null, 0x0
	buffer_gl1_inv
	buffer_gl0_inv
	s_barrier
.LBB10_355:                             ;   in Loop: Header=BB10_70 Depth=1
	s_or_b32 exec_lo, exec_lo, s18
.LBB10_356:                             ;   in Loop: Header=BB10_70 Depth=1
	s_delay_alu instid0(SALU_CYCLE_1) | instskip(SKIP_3) | instid1(VALU_DEP_2)
	s_or_b32 exec_lo, exec_lo, s9
	v_sub_nc_u32_e32 v52, v12, v100
	v_dual_mov_b32 v14, v0 :: v_dual_and_b32 v17, 7, v34
	s_mov_b32 s18, exec_lo
	v_cmpx_lt_i32_e32 0, v52
	s_cbranch_execz .LBB10_364
; %bb.357:                              ;   in Loop: Header=BB10_70 Depth=1
	s_delay_alu instid0(VALU_DEP_2)
	v_mul_lo_u32 v10, v17, s14
	v_mov_b32_e32 v14, v34
	v_add_co_u32 v87, vcc_lo, 0, 0
	v_dual_mov_b32 v86, v3 :: v_dual_mov_b32 v15, v66
	v_mov_b32_e32 v16, v67
	s_mov_b32 s19, 0
	v_ashrrev_i32_e32 v11, 31, v10
	s_delay_alu instid0(VALU_DEP_1) | instskip(SKIP_2) | instid1(VALU_DEP_3)
	v_lshlrev_b64 v[12:13], 4, v[10:11]
	v_add_co_ci_u32_e32 v11, vcc_lo, 1, v14, vcc_lo
	v_mov_b32_e32 v14, v0
	v_add_co_u32 v82, vcc_lo, v1, v12
	s_delay_alu instid0(VALU_DEP_4)
	v_add_co_ci_u32_e32 v83, vcc_lo, v117, v13, vcc_lo
	s_set_inst_prefetch_distance 0x1
	s_branch .LBB10_359
.LBB10_358:                             ;   in Loop: Header=BB10_359 Depth=2
	s_or_b32 exec_lo, exec_lo, s9
	s_waitcnt vmcnt(0) lgkmcnt(0)
	v_alignbit_b32 v10, v97, v10, v86
	v_alignbit_b32 v12, v96, v97, v86
	v_dual_mov_b32 v13, v11 :: v_dual_add_nc_u32 v14, v14, v2
	v_sub_nc_u32_e32 v52, v52, v102
	s_delay_alu instid0(VALU_DEP_4) | instskip(NEXT) | instid1(VALU_DEP_4)
	v_or_b32_e32 v10, v87, v10
	v_or_b32_e32 v12, v87, v12
	v_add_co_u32 v15, vcc_lo, v15, v102
	v_add_co_ci_u32_e32 v16, vcc_lo, v16, v114, vcc_lo
	global_store_b128 v[82:83], v[10:13], off
	v_cmp_gt_i32_e32 vcc_lo, 1, v52
	v_add_co_u32 v82, s9, v82, v68
	v_add_nc_u32_e32 v86, v86, v116
	v_add_co_ci_u32_e64 v83, s9, v83, v69, s9
	s_or_b32 s19, vcc_lo, s19
	s_delay_alu instid0(SALU_CYCLE_1)
	s_and_not1_b32 exec_lo, exec_lo, s19
	s_cbranch_execz .LBB10_363
.LBB10_359:                             ;   Parent Loop BB10_70 Depth=1
                                        ; =>  This Inner Loop Header: Depth=2
	v_dual_mov_b32 v13, v16 :: v_dual_and_b32 v12, -4, v15
	v_min_u32_e32 v84, 8, v52
	v_dual_mov_b32 v96, 0 :: v_dual_and_b32 v85, 3, v15
	v_mov_b32_e32 v97, 0
	flat_load_b32 v10, v[12:13] glc
	v_add_co_u32 v84, s9, v85, v84
	s_delay_alu instid0(VALU_DEP_1) | instskip(SKIP_1) | instid1(VALU_DEP_1)
	v_add_co_ci_u32_e64 v85, null, 0, 0, s9
	s_mov_b32 s9, exec_lo
	v_cmpx_lt_u64_e32 4, v[84:85]
	s_cbranch_execz .LBB10_361
; %bb.360:                              ;   in Loop: Header=BB10_359 Depth=2
	flat_load_b32 v97, v[12:13] offset:4 glc
.LBB10_361:                             ;   in Loop: Header=BB10_359 Depth=2
	s_or_b32 exec_lo, exec_lo, s9
	s_delay_alu instid0(SALU_CYCLE_1)
	s_mov_b32 s9, exec_lo
	v_cmpx_lt_u64_e32 8, v[84:85]
	s_cbranch_execz .LBB10_358
; %bb.362:                              ;   in Loop: Header=BB10_359 Depth=2
	flat_load_b32 v96, v[12:13] offset:8 glc
	s_branch .LBB10_358
.LBB10_363:                             ;   in Loop: Header=BB10_70 Depth=1
	s_set_inst_prefetch_distance 0x2
	s_or_b32 exec_lo, exec_lo, s19
.LBB10_364:                             ;   in Loop: Header=BB10_70 Depth=1
	s_delay_alu instid0(SALU_CYCLE_1) | instskip(SKIP_2) | instid1(VALU_DEP_2)
	s_or_b32 exec_lo, exec_lo, s18
	v_and_b32_e32 v52, 0x7ffffff8, v34
	v_cmp_gt_i32_e64 s9, s14, v14
	v_cmp_eq_u64_e32 vcc_lo, 0x7ffffff8, v[52:53]
	s_delay_alu instid0(VALU_DEP_2) | instskip(NEXT) | instid1(SALU_CYCLE_1)
	s_and_b32 s9, vcc_lo, s9
	s_and_saveexec_b32 s18, s9
	s_cbranch_execz .LBB10_67
; %bb.365:                              ;   in Loop: Header=BB10_70 Depth=1
	v_mul_lo_u32 v10, v17, s14
	v_ashrrev_i32_e32 v15, 31, v14
	s_mov_b32 s19, 0
	s_delay_alu instid0(VALU_DEP_1) | instskip(SKIP_1) | instid1(VALU_DEP_4)
	v_lshlrev_b64 v[12:13], 4, v[14:15]
	v_mov_b32_e32 v15, v34
	v_ashrrev_i32_e32 v11, 31, v10
	s_delay_alu instid0(VALU_DEP_1) | instskip(NEXT) | instid1(VALU_DEP_1)
	v_lshlrev_b64 v[10:11], 4, v[10:11]
	v_add_co_u32 v12, vcc_lo, v12, v10
	s_delay_alu instid0(VALU_DEP_2) | instskip(SKIP_2) | instid1(VALU_DEP_4)
	v_add_co_ci_u32_e32 v13, vcc_lo, v13, v11, vcc_lo
	v_add_co_u32 v10, vcc_lo, 0, 0
	v_add_co_ci_u32_e32 v11, vcc_lo, 1, v15, vcc_lo
	v_add_co_u32 v15, vcc_lo, v32, v12
	s_delay_alu instid0(VALU_DEP_4)
	v_add_co_ci_u32_e32 v16, vcc_lo, v33, v13, vcc_lo
.LBB10_366:                             ;   Parent Loop BB10_70 Depth=1
                                        ; =>  This Inner Loop Header: Depth=2
	s_delay_alu instid0(VALU_DEP_3) | instskip(SKIP_4) | instid1(VALU_DEP_1)
	v_dual_mov_b32 v12, v10 :: v_dual_mov_b32 v13, v11
	v_add_nc_u32_e32 v14, v14, v2
	global_store_b128 v[15:16], v[10:13], off
	v_cmp_le_i32_e32 vcc_lo, s14, v14
	v_add_co_u32 v15, s9, v15, v68
	v_add_co_ci_u32_e64 v16, s9, v16, v69, s9
	s_or_b32 s19, vcc_lo, s19
	s_delay_alu instid0(SALU_CYCLE_1)
	s_and_not1_b32 exec_lo, exec_lo, s19
	s_cbranch_execnz .LBB10_366
	s_branch .LBB10_67
.LBB10_367:
	s_trap 2
	s_sendmsg_rtn_b32 s0, sendmsg(MSG_RTN_GET_DOORBELL)
	s_mov_b32 ttmp2, m0
	s_waitcnt lgkmcnt(0)
	s_and_b32 s0, s0, 0x3ff
	s_delay_alu instid0(SALU_CYCLE_1) | instskip(NEXT) | instid1(SALU_CYCLE_1)
	s_bitset1_b32 s0, 10
	s_mov_b32 m0, s0
	s_sendmsg sendmsg(MSG_INTERRUPT)
	s_mov_b32 m0, ttmp2
.LBB10_368:                             ; =>This Inner Loop Header: Depth=1
	s_sethalt 5
	s_branch .LBB10_368
.LBB10_369:
	s_trap 2
	s_sendmsg_rtn_b32 s0, sendmsg(MSG_RTN_GET_DOORBELL)
	s_mov_b32 ttmp2, m0
	s_waitcnt lgkmcnt(0)
	s_and_b32 s0, s0, 0x3ff
	s_delay_alu instid0(SALU_CYCLE_1) | instskip(NEXT) | instid1(SALU_CYCLE_1)
	s_bitset1_b32 s0, 10
	s_mov_b32 m0, s0
	s_sendmsg sendmsg(MSG_INTERRUPT)
	s_mov_b32 m0, ttmp2
.LBB10_370:                             ; =>This Inner Loop Header: Depth=1
	s_sethalt 5
	s_branch .LBB10_370
.LBB10_371:
	s_or_b32 exec_lo, exec_lo, s15
.LBB10_372:
	s_delay_alu instid0(SALU_CYCLE_1)
	s_or_b32 exec_lo, exec_lo, s13
	s_and_saveexec_b32 s1, s12
	s_cbranch_execz .LBB10_374
; %bb.373:
	s_waitcnt lgkmcnt(0)
	flat_store_b64 v[20:21], v[36:37] offset:104
.LBB10_374:
	s_or_b32 exec_lo, exec_lo, s1
	s_and_saveexec_b32 s1, s0
	s_cbranch_execz .LBB10_376
; %bb.375:
	s_waitcnt lgkmcnt(0)
	flat_store_b64 v[26:27], v[8:9] offset:104
.LBB10_376:
	s_or_b32 exec_lo, exec_lo, s1
	s_delay_alu instid0(SALU_CYCLE_1)
	s_mov_b32 s0, exec_lo
	v_cmpx_ne_u32_e32 32, v2
	s_cbranch_execz .LBB10_461
; %bb.377:
	s_mov_b32 s1, exec_lo
	v_cmpx_ne_u32_e64 v2, v30
	s_xor_b32 s1, exec_lo, s1
	s_cbranch_execz .LBB10_459
; %bb.378:
	v_and_b32_e32 v0, 31, v31
	s_mov_b32 s2, exec_lo
	s_delay_alu instid0(VALU_DEP_1)
	v_cmpx_eq_u32_e32 0, v0
	s_cbranch_execz .LBB10_458
; %bb.379:
	s_mov_b32 s4, exec_lo
	s_mov_b32 s3, exec_lo
	v_mbcnt_lo_u32_b32 v0, s4, 0
	s_waitcnt vmcnt(0) lgkmcnt(0)
	s_waitcnt_vscnt null, 0x0
	buffer_gl1_inv
	buffer_gl0_inv
	v_cmpx_eq_u32_e32 0, v0
	s_cbranch_execz .LBB10_381
; %bb.380:
	s_bcnt1_i32_b32 s4, s4
	s_delay_alu instid0(SALU_CYCLE_1)
	v_dual_mov_b32 v1, 0 :: v_dual_mov_b32 v0, s4
	ds_add_u64 v0, v[0:1]
	s_cbranch_execnz .LBB10_403
.LBB10_381:
	s_or_b32 exec_lo, exec_lo, s3
	s_cbranch_execnz .LBB10_388
; %bb.382:
	v_ashrrev_i32_e32 v0, 31, v2
	s_mov_b32 s3, exec_lo
	s_delay_alu instid0(VALU_DEP_1) | instskip(NEXT) | instid1(VALU_DEP_1)
	v_lshrrev_b32_e32 v0, 27, v0
	v_add_nc_u32_e32 v0, v2, v0
	ds_load_b64 v[2:3], v0
	v_ashrrev_i32_e32 v0, 5, v0
	s_delay_alu instid0(VALU_DEP_1) | instskip(SKIP_1) | instid1(VALU_DEP_2)
	v_ashrrev_i32_e32 v1, 31, v0
	v_add_co_u32 v0, vcc_lo, v50, v0
	v_add_co_ci_u32_e32 v1, vcc_lo, v51, v1, vcc_lo
	s_waitcnt lgkmcnt(0)
	s_delay_alu instid0(VALU_DEP_1)
	v_cmpx_lt_u64_e64 v[2:3], v[0:1]
	s_cbranch_execz .LBB10_457
; %bb.383:
	s_mov_b32 s4, 0
	s_mov_b32 s7, 0
                                        ; implicit-def: $sgpr5
                                        ; implicit-def: $sgpr6
	s_branch .LBB10_397
.LBB10_384:
	s_trap 2
	s_sendmsg_rtn_b32 s0, sendmsg(MSG_RTN_GET_DOORBELL)
	s_mov_b32 ttmp2, m0
	s_waitcnt lgkmcnt(0)
	s_and_b32 s0, s0, 0x3ff
	s_delay_alu instid0(SALU_CYCLE_1) | instskip(NEXT) | instid1(SALU_CYCLE_1)
	s_bitset1_b32 s0, 10
	s_mov_b32 m0, s0
	s_sendmsg sendmsg(MSG_INTERRUPT)
	s_mov_b32 m0, ttmp2
.LBB10_385:                             ; =>This Inner Loop Header: Depth=1
	s_sethalt 5
	s_branch .LBB10_385
.LBB10_386:
	s_trap 2
	s_sendmsg_rtn_b32 s0, sendmsg(MSG_RTN_GET_DOORBELL)
	s_mov_b32 ttmp2, m0
	s_waitcnt lgkmcnt(0)
	s_and_b32 s0, s0, 0x3ff
	s_delay_alu instid0(SALU_CYCLE_1) | instskip(NEXT) | instid1(SALU_CYCLE_1)
	s_bitset1_b32 s0, 10
	s_mov_b32 m0, s0
	s_sendmsg sendmsg(MSG_INTERRUPT)
	s_mov_b32 m0, ttmp2
.LBB10_387:                             ; =>This Inner Loop Header: Depth=1
	s_sethalt 5
	s_branch .LBB10_387
.LBB10_388:
	s_trap 2
	s_sendmsg_rtn_b32 s0, sendmsg(MSG_RTN_GET_DOORBELL)
	s_mov_b32 ttmp2, m0
	s_waitcnt lgkmcnt(0)
	s_and_b32 s0, s0, 0x3ff
	s_delay_alu instid0(SALU_CYCLE_1) | instskip(NEXT) | instid1(SALU_CYCLE_1)
	s_bitset1_b32 s0, 10
	s_mov_b32 m0, s0
	s_sendmsg sendmsg(MSG_INTERRUPT)
	s_mov_b32 m0, ttmp2
.LBB10_389:                             ; =>This Inner Loop Header: Depth=1
	s_sethalt 5
	s_branch .LBB10_389
.LBB10_390:
	s_trap 2
	s_sendmsg_rtn_b32 s0, sendmsg(MSG_RTN_GET_DOORBELL)
	s_mov_b32 ttmp2, m0
	s_waitcnt lgkmcnt(0)
	s_and_b32 s0, s0, 0x3ff
	s_delay_alu instid0(SALU_CYCLE_1) | instskip(NEXT) | instid1(SALU_CYCLE_1)
	s_bitset1_b32 s0, 10
	s_mov_b32 m0, s0
	s_sendmsg sendmsg(MSG_INTERRUPT)
	s_mov_b32 m0, ttmp2
.LBB10_391:                             ; =>This Inner Loop Header: Depth=1
	s_sethalt 5
	s_branch .LBB10_391
.LBB10_392:
	s_trap 2
	s_sendmsg_rtn_b32 s0, sendmsg(MSG_RTN_GET_DOORBELL)
	s_mov_b32 ttmp2, m0
	s_waitcnt lgkmcnt(0)
	s_and_b32 s0, s0, 0x3ff
	s_delay_alu instid0(SALU_CYCLE_1) | instskip(NEXT) | instid1(SALU_CYCLE_1)
	s_bitset1_b32 s0, 10
	s_mov_b32 m0, s0
	s_sendmsg sendmsg(MSG_INTERRUPT)
	s_mov_b32 m0, ttmp2
.LBB10_393:                             ; =>This Inner Loop Header: Depth=1
	s_sethalt 5
	s_branch .LBB10_393
.LBB10_394:
	s_trap 2
	s_sendmsg_rtn_b32 s0, sendmsg(MSG_RTN_GET_DOORBELL)
	s_mov_b32 ttmp2, m0
	s_waitcnt lgkmcnt(0)
	s_and_b32 s0, s0, 0x3ff
	s_delay_alu instid0(SALU_CYCLE_1) | instskip(NEXT) | instid1(SALU_CYCLE_1)
	s_bitset1_b32 s0, 10
	s_mov_b32 m0, s0
	s_sendmsg sendmsg(MSG_INTERRUPT)
	s_mov_b32 m0, ttmp2
.LBB10_395:                             ; =>This Inner Loop Header: Depth=1
	s_sethalt 5
	s_branch .LBB10_395
.LBB10_396:                             ;   in Loop: Header=BB10_397 Depth=1
	s_or_b32 exec_lo, exec_lo, s10
	s_delay_alu instid0(SALU_CYCLE_1) | instskip(NEXT) | instid1(SALU_CYCLE_1)
	s_and_b32 s8, exec_lo, s9
	s_or_b32 s4, s8, s4
	s_and_not1_b32 s5, s5, exec_lo
	s_and_b32 s8, s6, exec_lo
	s_delay_alu instid0(SALU_CYCLE_1)
	s_or_b32 s5, s5, s8
	s_and_not1_b32 exec_lo, exec_lo, s4
	s_cbranch_execz .LBB10_455
.LBB10_397:                             ; =>This Inner Loop Header: Depth=1
	s_add_i32 s7, s7, 1
                                        ; implicit-def: $sgpr9
	s_delay_alu instid0(SALU_CYCLE_1) | instskip(SKIP_1) | instid1(SALU_CYCLE_1)
	s_cmpk_lg_i32 s7, 0x2710
	s_cselect_b32 s8, -1, 0
	s_and_b32 vcc_lo, exec_lo, s8
	s_cbranch_vccz .LBB10_401
.LBB10_398:                             ;   in Loop: Header=BB10_397 Depth=1
	s_and_not1_b32 s6, s6, exec_lo
	s_and_b32 s10, s9, exec_lo
	s_mov_b32 s9, -1
	s_or_b32 s6, s6, s10
	s_and_saveexec_b32 s10, s8
	s_cbranch_execz .LBB10_396
; %bb.399:                              ;   in Loop: Header=BB10_397 Depth=1
	s_sleep 1
	s_cbranch_execnz .LBB10_423
; %bb.400:                              ;   in Loop: Header=BB10_397 Depth=1
	ds_load_b64 v[2:3], v0
	s_and_not1_b32 s6, s6, exec_lo
	s_waitcnt lgkmcnt(0)
	v_cmp_ge_u64_e32 vcc_lo, v[2:3], v[0:1]
	s_or_not1_b32 s9, vcc_lo, exec_lo
	s_branch .LBB10_396
.LBB10_401:                             ;   in Loop: Header=BB10_397 Depth=1
	s_cbranch_execnz .LBB10_429
; %bb.402:                              ;   in Loop: Header=BB10_397 Depth=1
	ds_load_b64 v[2:3], v0
	s_and_not1_b32 s8, s8, exec_lo
	s_mov_b32 s7, 0
	s_mov_b32 s9, -1
	s_waitcnt lgkmcnt(0)
	flat_load_b32 v2, v[2:3] glc
	s_waitcnt vmcnt(0) lgkmcnt(0)
	buffer_gl1_inv
	buffer_gl0_inv
	v_cmp_eq_u32_e32 vcc_lo, 0, v2
	s_and_b32 s10, vcc_lo, exec_lo
	s_delay_alu instid0(SALU_CYCLE_1)
	s_or_b32 s8, s8, s10
	s_branch .LBB10_398
.LBB10_403:
	s_trap 2
	s_sendmsg_rtn_b32 s0, sendmsg(MSG_RTN_GET_DOORBELL)
	s_mov_b32 ttmp2, m0
	s_waitcnt lgkmcnt(0)
	s_and_b32 s0, s0, 0x3ff
	s_delay_alu instid0(SALU_CYCLE_1) | instskip(NEXT) | instid1(SALU_CYCLE_1)
	s_bitset1_b32 s0, 10
	s_mov_b32 m0, s0
	s_sendmsg sendmsg(MSG_INTERRUPT)
	s_mov_b32 m0, ttmp2
.LBB10_404:                             ; =>This Inner Loop Header: Depth=1
	s_sethalt 5
	s_branch .LBB10_404
.LBB10_405:
	s_trap 2
	s_sendmsg_rtn_b32 s0, sendmsg(MSG_RTN_GET_DOORBELL)
	s_mov_b32 ttmp2, m0
	s_waitcnt lgkmcnt(0)
	s_and_b32 s0, s0, 0x3ff
	s_delay_alu instid0(SALU_CYCLE_1) | instskip(NEXT) | instid1(SALU_CYCLE_1)
	s_bitset1_b32 s0, 10
	s_mov_b32 m0, s0
	s_sendmsg sendmsg(MSG_INTERRUPT)
	s_mov_b32 m0, ttmp2
.LBB10_406:                             ; =>This Inner Loop Header: Depth=1
	s_sethalt 5
	s_branch .LBB10_406
.LBB10_407:
	s_trap 2
	s_sendmsg_rtn_b32 s0, sendmsg(MSG_RTN_GET_DOORBELL)
	s_mov_b32 ttmp2, m0
	s_waitcnt lgkmcnt(0)
	s_and_b32 s0, s0, 0x3ff
	s_delay_alu instid0(SALU_CYCLE_1) | instskip(NEXT) | instid1(SALU_CYCLE_1)
	s_bitset1_b32 s0, 10
	s_mov_b32 m0, s0
	s_sendmsg sendmsg(MSG_INTERRUPT)
	s_mov_b32 m0, ttmp2
.LBB10_408:                             ; =>This Inner Loop Header: Depth=1
	s_sethalt 5
	s_branch .LBB10_408
.LBB10_409:
	s_trap 2
	s_sendmsg_rtn_b32 s0, sendmsg(MSG_RTN_GET_DOORBELL)
	s_mov_b32 ttmp2, m0
	s_waitcnt lgkmcnt(0)
	s_and_b32 s0, s0, 0x3ff
	s_delay_alu instid0(SALU_CYCLE_1) | instskip(NEXT) | instid1(SALU_CYCLE_1)
	s_bitset1_b32 s0, 10
	s_mov_b32 m0, s0
	s_sendmsg sendmsg(MSG_INTERRUPT)
	s_mov_b32 m0, ttmp2
.LBB10_410:                             ; =>This Inner Loop Header: Depth=1
	s_sethalt 5
	s_branch .LBB10_410
.LBB10_411:
	s_trap 2
	s_sendmsg_rtn_b32 s0, sendmsg(MSG_RTN_GET_DOORBELL)
	s_mov_b32 ttmp2, m0
	s_waitcnt lgkmcnt(0)
	s_and_b32 s0, s0, 0x3ff
	s_delay_alu instid0(SALU_CYCLE_1) | instskip(NEXT) | instid1(SALU_CYCLE_1)
	s_bitset1_b32 s0, 10
	s_mov_b32 m0, s0
	s_sendmsg sendmsg(MSG_INTERRUPT)
	s_mov_b32 m0, ttmp2
.LBB10_412:                             ; =>This Inner Loop Header: Depth=1
	s_sethalt 5
	s_branch .LBB10_412
.LBB10_413:
	s_trap 2
	s_sendmsg_rtn_b32 s0, sendmsg(MSG_RTN_GET_DOORBELL)
	s_mov_b32 ttmp2, m0
	s_waitcnt lgkmcnt(0)
	s_and_b32 s0, s0, 0x3ff
	s_delay_alu instid0(SALU_CYCLE_1) | instskip(NEXT) | instid1(SALU_CYCLE_1)
	s_bitset1_b32 s0, 10
	s_mov_b32 m0, s0
	s_sendmsg sendmsg(MSG_INTERRUPT)
	s_mov_b32 m0, ttmp2
.LBB10_414:                             ; =>This Inner Loop Header: Depth=1
	s_sethalt 5
	s_branch .LBB10_414
.LBB10_415:
	s_trap 2
	s_sendmsg_rtn_b32 s0, sendmsg(MSG_RTN_GET_DOORBELL)
	s_mov_b32 ttmp2, m0
	s_waitcnt lgkmcnt(0)
	s_and_b32 s0, s0, 0x3ff
	s_delay_alu instid0(SALU_CYCLE_1) | instskip(NEXT) | instid1(SALU_CYCLE_1)
	s_bitset1_b32 s0, 10
	s_mov_b32 m0, s0
	s_sendmsg sendmsg(MSG_INTERRUPT)
	s_mov_b32 m0, ttmp2
.LBB10_416:                             ; =>This Inner Loop Header: Depth=1
	s_sethalt 5
	s_branch .LBB10_416
.LBB10_417:
	s_trap 2
	s_sendmsg_rtn_b32 s0, sendmsg(MSG_RTN_GET_DOORBELL)
	s_mov_b32 ttmp2, m0
	s_waitcnt lgkmcnt(0)
	s_and_b32 s0, s0, 0x3ff
	s_delay_alu instid0(SALU_CYCLE_1) | instskip(NEXT) | instid1(SALU_CYCLE_1)
	s_bitset1_b32 s0, 10
	s_mov_b32 m0, s0
	s_sendmsg sendmsg(MSG_INTERRUPT)
	s_mov_b32 m0, ttmp2
.LBB10_418:                             ; =>This Inner Loop Header: Depth=1
	s_sethalt 5
	s_branch .LBB10_418
.LBB10_419:
	s_trap 2
	s_sendmsg_rtn_b32 s0, sendmsg(MSG_RTN_GET_DOORBELL)
	s_mov_b32 ttmp2, m0
	s_waitcnt lgkmcnt(0)
	s_and_b32 s0, s0, 0x3ff
	s_delay_alu instid0(SALU_CYCLE_1) | instskip(NEXT) | instid1(SALU_CYCLE_1)
	s_bitset1_b32 s0, 10
	s_mov_b32 m0, s0
	s_sendmsg sendmsg(MSG_INTERRUPT)
	s_mov_b32 m0, ttmp2
.LBB10_420:                             ; =>This Inner Loop Header: Depth=1
	s_sethalt 5
	s_branch .LBB10_420
.LBB10_421:
	s_trap 2
	s_sendmsg_rtn_b32 s0, sendmsg(MSG_RTN_GET_DOORBELL)
	s_mov_b32 ttmp2, m0
	s_waitcnt lgkmcnt(0)
	s_and_b32 s0, s0, 0x3ff
	s_delay_alu instid0(SALU_CYCLE_1) | instskip(NEXT) | instid1(SALU_CYCLE_1)
	s_bitset1_b32 s0, 10
	s_mov_b32 m0, s0
	s_sendmsg sendmsg(MSG_INTERRUPT)
	s_mov_b32 m0, ttmp2
.LBB10_422:                             ; =>This Inner Loop Header: Depth=1
	s_sethalt 5
	s_branch .LBB10_422
.LBB10_423:
	s_trap 2
	s_sendmsg_rtn_b32 s0, sendmsg(MSG_RTN_GET_DOORBELL)
	s_mov_b32 ttmp2, m0
	s_waitcnt lgkmcnt(0)
	s_and_b32 s0, s0, 0x3ff
	s_delay_alu instid0(SALU_CYCLE_1) | instskip(NEXT) | instid1(SALU_CYCLE_1)
	s_bitset1_b32 s0, 10
	s_mov_b32 m0, s0
	s_sendmsg sendmsg(MSG_INTERRUPT)
	s_mov_b32 m0, ttmp2
.LBB10_424:                             ; =>This Inner Loop Header: Depth=1
	s_sethalt 5
	s_branch .LBB10_424
.LBB10_425:
	s_trap 2
	s_sendmsg_rtn_b32 s0, sendmsg(MSG_RTN_GET_DOORBELL)
	s_mov_b32 ttmp2, m0
	s_waitcnt lgkmcnt(0)
	s_and_b32 s0, s0, 0x3ff
	s_delay_alu instid0(SALU_CYCLE_1) | instskip(NEXT) | instid1(SALU_CYCLE_1)
	s_bitset1_b32 s0, 10
	s_mov_b32 m0, s0
	s_sendmsg sendmsg(MSG_INTERRUPT)
	s_mov_b32 m0, ttmp2
.LBB10_426:                             ; =>This Inner Loop Header: Depth=1
	s_sethalt 5
	s_branch .LBB10_426
.LBB10_427:
	s_trap 2
	s_sendmsg_rtn_b32 s0, sendmsg(MSG_RTN_GET_DOORBELL)
	s_mov_b32 ttmp2, m0
	s_waitcnt lgkmcnt(0)
	s_and_b32 s0, s0, 0x3ff
	s_delay_alu instid0(SALU_CYCLE_1) | instskip(NEXT) | instid1(SALU_CYCLE_1)
	s_bitset1_b32 s0, 10
	s_mov_b32 m0, s0
	s_sendmsg sendmsg(MSG_INTERRUPT)
	s_mov_b32 m0, ttmp2
.LBB10_428:                             ; =>This Inner Loop Header: Depth=1
	s_sethalt 5
	s_branch .LBB10_428
.LBB10_429:
	s_trap 2
	s_sendmsg_rtn_b32 s0, sendmsg(MSG_RTN_GET_DOORBELL)
	s_mov_b32 ttmp2, m0
	s_waitcnt lgkmcnt(0)
	s_and_b32 s0, s0, 0x3ff
	s_delay_alu instid0(SALU_CYCLE_1) | instskip(NEXT) | instid1(SALU_CYCLE_1)
	s_bitset1_b32 s0, 10
	s_mov_b32 m0, s0
	s_sendmsg sendmsg(MSG_INTERRUPT)
	s_mov_b32 m0, ttmp2
.LBB10_430:                             ; =>This Inner Loop Header: Depth=1
	s_sethalt 5
	s_branch .LBB10_430
.LBB10_431:
	s_trap 2
	s_sendmsg_rtn_b32 s0, sendmsg(MSG_RTN_GET_DOORBELL)
	s_mov_b32 ttmp2, m0
	s_waitcnt lgkmcnt(0)
	s_and_b32 s0, s0, 0x3ff
	s_delay_alu instid0(SALU_CYCLE_1) | instskip(NEXT) | instid1(SALU_CYCLE_1)
	s_bitset1_b32 s0, 10
	s_mov_b32 m0, s0
	s_sendmsg sendmsg(MSG_INTERRUPT)
	s_mov_b32 m0, ttmp2
.LBB10_432:                             ; =>This Inner Loop Header: Depth=1
	s_sethalt 5
	s_branch .LBB10_432
.LBB10_433:
	s_trap 2
	s_sendmsg_rtn_b32 s0, sendmsg(MSG_RTN_GET_DOORBELL)
	s_mov_b32 ttmp2, m0
	s_waitcnt lgkmcnt(0)
	s_and_b32 s0, s0, 0x3ff
	s_delay_alu instid0(SALU_CYCLE_1) | instskip(NEXT) | instid1(SALU_CYCLE_1)
	s_bitset1_b32 s0, 10
	s_mov_b32 m0, s0
	s_sendmsg sendmsg(MSG_INTERRUPT)
	s_mov_b32 m0, ttmp2
.LBB10_434:                             ; =>This Inner Loop Header: Depth=1
	s_sethalt 5
	s_branch .LBB10_434
.LBB10_435:
	s_trap 2
	s_sendmsg_rtn_b32 s0, sendmsg(MSG_RTN_GET_DOORBELL)
	s_mov_b32 ttmp2, m0
	s_waitcnt lgkmcnt(0)
	s_and_b32 s0, s0, 0x3ff
	s_delay_alu instid0(SALU_CYCLE_1) | instskip(NEXT) | instid1(SALU_CYCLE_1)
	s_bitset1_b32 s0, 10
	s_mov_b32 m0, s0
	s_sendmsg sendmsg(MSG_INTERRUPT)
	s_mov_b32 m0, ttmp2
.LBB10_436:                             ; =>This Inner Loop Header: Depth=1
	s_sethalt 5
	s_branch .LBB10_436
.LBB10_437:
	s_trap 2
	s_sendmsg_rtn_b32 s0, sendmsg(MSG_RTN_GET_DOORBELL)
	s_mov_b32 ttmp2, m0
	s_waitcnt lgkmcnt(0)
	s_and_b32 s0, s0, 0x3ff
	s_delay_alu instid0(SALU_CYCLE_1) | instskip(NEXT) | instid1(SALU_CYCLE_1)
	s_bitset1_b32 s0, 10
	s_mov_b32 m0, s0
	s_sendmsg sendmsg(MSG_INTERRUPT)
	s_mov_b32 m0, ttmp2
.LBB10_438:                             ; =>This Inner Loop Header: Depth=1
	s_sethalt 5
	s_branch .LBB10_438
.LBB10_439:
	s_trap 2
	s_sendmsg_rtn_b32 s0, sendmsg(MSG_RTN_GET_DOORBELL)
	s_mov_b32 ttmp2, m0
	s_waitcnt lgkmcnt(0)
	s_and_b32 s0, s0, 0x3ff
	s_delay_alu instid0(SALU_CYCLE_1) | instskip(NEXT) | instid1(SALU_CYCLE_1)
	s_bitset1_b32 s0, 10
	s_mov_b32 m0, s0
	s_sendmsg sendmsg(MSG_INTERRUPT)
	s_mov_b32 m0, ttmp2
.LBB10_440:                             ; =>This Inner Loop Header: Depth=1
	s_sethalt 5
	s_branch .LBB10_440
.LBB10_441:
	s_trap 2
	s_sendmsg_rtn_b32 s0, sendmsg(MSG_RTN_GET_DOORBELL)
	s_mov_b32 ttmp2, m0
	s_waitcnt lgkmcnt(0)
	s_and_b32 s0, s0, 0x3ff
	s_delay_alu instid0(SALU_CYCLE_1) | instskip(NEXT) | instid1(SALU_CYCLE_1)
	s_bitset1_b32 s0, 10
	s_mov_b32 m0, s0
	s_sendmsg sendmsg(MSG_INTERRUPT)
	s_mov_b32 m0, ttmp2
.LBB10_442:                             ; =>This Inner Loop Header: Depth=1
	s_sethalt 5
	s_branch .LBB10_442
.LBB10_443:
	s_trap 2
	s_sendmsg_rtn_b32 s0, sendmsg(MSG_RTN_GET_DOORBELL)
	s_mov_b32 ttmp2, m0
	s_waitcnt lgkmcnt(0)
	s_and_b32 s0, s0, 0x3ff
	s_delay_alu instid0(SALU_CYCLE_1) | instskip(NEXT) | instid1(SALU_CYCLE_1)
	s_bitset1_b32 s0, 10
	s_mov_b32 m0, s0
	s_sendmsg sendmsg(MSG_INTERRUPT)
	s_mov_b32 m0, ttmp2
.LBB10_444:                             ; =>This Inner Loop Header: Depth=1
	s_sethalt 5
	s_branch .LBB10_444
.LBB10_445:
	s_trap 2
	s_sendmsg_rtn_b32 s0, sendmsg(MSG_RTN_GET_DOORBELL)
	s_mov_b32 ttmp2, m0
	s_waitcnt lgkmcnt(0)
	s_and_b32 s0, s0, 0x3ff
	s_delay_alu instid0(SALU_CYCLE_1) | instskip(NEXT) | instid1(SALU_CYCLE_1)
	s_bitset1_b32 s0, 10
	s_mov_b32 m0, s0
	s_sendmsg sendmsg(MSG_INTERRUPT)
	s_mov_b32 m0, ttmp2
.LBB10_446:                             ; =>This Inner Loop Header: Depth=1
	s_sethalt 5
	s_branch .LBB10_446
.LBB10_447:
	s_trap 2
	s_sendmsg_rtn_b32 s0, sendmsg(MSG_RTN_GET_DOORBELL)
	s_mov_b32 ttmp2, m0
	s_waitcnt lgkmcnt(0)
	s_and_b32 s0, s0, 0x3ff
	s_delay_alu instid0(SALU_CYCLE_1) | instskip(NEXT) | instid1(SALU_CYCLE_1)
	s_bitset1_b32 s0, 10
	s_mov_b32 m0, s0
	s_sendmsg sendmsg(MSG_INTERRUPT)
	s_mov_b32 m0, ttmp2
.LBB10_448:                             ; =>This Inner Loop Header: Depth=1
	s_sethalt 5
	s_branch .LBB10_448
.LBB10_449:
	s_trap 2
	s_sendmsg_rtn_b32 s0, sendmsg(MSG_RTN_GET_DOORBELL)
	s_mov_b32 ttmp2, m0
	s_waitcnt lgkmcnt(0)
	s_and_b32 s0, s0, 0x3ff
	s_delay_alu instid0(SALU_CYCLE_1) | instskip(NEXT) | instid1(SALU_CYCLE_1)
	s_bitset1_b32 s0, 10
	s_mov_b32 m0, s0
	s_sendmsg sendmsg(MSG_INTERRUPT)
	s_mov_b32 m0, ttmp2
.LBB10_450:                             ; =>This Inner Loop Header: Depth=1
	s_sethalt 5
	s_branch .LBB10_450
.LBB10_451:
	s_trap 2
	s_sendmsg_rtn_b32 s0, sendmsg(MSG_RTN_GET_DOORBELL)
	s_mov_b32 ttmp2, m0
	s_waitcnt lgkmcnt(0)
	s_and_b32 s0, s0, 0x3ff
	s_delay_alu instid0(SALU_CYCLE_1) | instskip(NEXT) | instid1(SALU_CYCLE_1)
	s_bitset1_b32 s0, 10
	s_mov_b32 m0, s0
	s_sendmsg sendmsg(MSG_INTERRUPT)
	s_mov_b32 m0, ttmp2
.LBB10_452:                             ; =>This Inner Loop Header: Depth=1
	s_sethalt 5
	s_branch .LBB10_452
.LBB10_453:
	s_trap 2
	s_sendmsg_rtn_b32 s0, sendmsg(MSG_RTN_GET_DOORBELL)
	s_mov_b32 ttmp2, m0
	s_waitcnt lgkmcnt(0)
	s_and_b32 s0, s0, 0x3ff
	s_delay_alu instid0(SALU_CYCLE_1) | instskip(NEXT) | instid1(SALU_CYCLE_1)
	s_bitset1_b32 s0, 10
	s_mov_b32 m0, s0
	s_sendmsg sendmsg(MSG_INTERRUPT)
	s_mov_b32 m0, ttmp2
.LBB10_454:                             ; =>This Inner Loop Header: Depth=1
	s_sethalt 5
	s_branch .LBB10_454
.LBB10_455:
	s_or_b32 exec_lo, exec_lo, s4
	s_and_saveexec_b32 s4, s5
	s_delay_alu instid0(SALU_CYCLE_1)
	s_xor_b32 s4, exec_lo, s4
	s_cbranch_execz .LBB10_457
; %bb.456:
	v_mov_b32_e32 v0, 1
	ds_store_b32 v0, v0
	s_cbranch_execnz .LBB10_463
.LBB10_457:
	s_or_b32 exec_lo, exec_lo, s3
	;;#ASMSTART
	s_wakeup
	;;#ASMEND
.LBB10_458:
	s_or_b32 exec_lo, exec_lo, s2
.LBB10_459:
	s_and_not1_saveexec_b32 s1, s1
	s_cbranch_execz .LBB10_461
; %bb.460:
	s_waitcnt vmcnt(0) lgkmcnt(0)
	s_waitcnt_vscnt null, 0x0
	buffer_gl1_inv
	buffer_gl0_inv
	s_barrier
.LBB10_461:
	s_or_b32 exec_lo, exec_lo, s0
.LBB10_462:
	s_delay_alu instid0(SALU_CYCLE_1)
	s_or_b32 exec_lo, exec_lo, s11
	s_waitcnt vmcnt(0) lgkmcnt(0)
	s_setpc_b64 s[30:31]
.LBB10_463:
	s_trap 2
	s_sendmsg_rtn_b32 s0, sendmsg(MSG_RTN_GET_DOORBELL)
	s_mov_b32 ttmp2, m0
	s_waitcnt lgkmcnt(0)
	s_and_b32 s0, s0, 0x3ff
	s_delay_alu instid0(SALU_CYCLE_1) | instskip(NEXT) | instid1(SALU_CYCLE_1)
	s_bitset1_b32 s0, 10
	s_mov_b32 m0, s0
	s_sendmsg sendmsg(MSG_INTERRUPT)
	s_mov_b32 m0, ttmp2
.LBB10_464:                             ; =>This Inner Loop Header: Depth=1
	s_sethalt 5
	s_branch .LBB10_464
.LBB10_465:
	s_trap 2
	s_sendmsg_rtn_b32 s0, sendmsg(MSG_RTN_GET_DOORBELL)
	s_mov_b32 ttmp2, m0
	s_waitcnt lgkmcnt(0)
	s_and_b32 s0, s0, 0x3ff
	s_delay_alu instid0(SALU_CYCLE_1) | instskip(NEXT) | instid1(SALU_CYCLE_1)
	s_bitset1_b32 s0, 10
	s_mov_b32 m0, s0
	s_sendmsg sendmsg(MSG_INTERRUPT)
	s_mov_b32 m0, ttmp2
.LBB10_466:                             ; =>This Inner Loop Header: Depth=1
	s_sethalt 5
	s_branch .LBB10_466
.LBB10_467:
	s_trap 2
	s_sendmsg_rtn_b32 s0, sendmsg(MSG_RTN_GET_DOORBELL)
	s_mov_b32 ttmp2, m0
	s_waitcnt lgkmcnt(0)
	s_and_b32 s0, s0, 0x3ff
	s_delay_alu instid0(SALU_CYCLE_1) | instskip(NEXT) | instid1(SALU_CYCLE_1)
	s_bitset1_b32 s0, 10
	s_mov_b32 m0, s0
	s_sendmsg sendmsg(MSG_INTERRUPT)
	s_mov_b32 m0, ttmp2
.LBB10_468:                             ; =>This Inner Loop Header: Depth=1
	s_sethalt 5
	s_branch .LBB10_468
.LBB10_469:
	s_trap 2
	s_sendmsg_rtn_b32 s0, sendmsg(MSG_RTN_GET_DOORBELL)
	s_mov_b32 ttmp2, m0
	s_waitcnt lgkmcnt(0)
	s_and_b32 s0, s0, 0x3ff
	s_delay_alu instid0(SALU_CYCLE_1) | instskip(NEXT) | instid1(SALU_CYCLE_1)
	s_bitset1_b32 s0, 10
	s_mov_b32 m0, s0
	s_sendmsg sendmsg(MSG_INTERRUPT)
	s_mov_b32 m0, ttmp2
.LBB10_470:                             ; =>This Inner Loop Header: Depth=1
	s_sethalt 5
	s_branch .LBB10_470
.LBB10_471:
	s_trap 2
	s_sendmsg_rtn_b32 s0, sendmsg(MSG_RTN_GET_DOORBELL)
	s_mov_b32 ttmp2, m0
	s_waitcnt lgkmcnt(0)
	s_and_b32 s0, s0, 0x3ff
	s_delay_alu instid0(SALU_CYCLE_1) | instskip(NEXT) | instid1(SALU_CYCLE_1)
	s_bitset1_b32 s0, 10
	s_mov_b32 m0, s0
	s_sendmsg sendmsg(MSG_INTERRUPT)
	s_mov_b32 m0, ttmp2
.LBB10_472:                             ; =>This Inner Loop Header: Depth=1
	s_sethalt 5
	s_branch .LBB10_472
.LBB10_473:
	s_trap 2
	s_sendmsg_rtn_b32 s0, sendmsg(MSG_RTN_GET_DOORBELL)
	s_mov_b32 ttmp2, m0
	s_waitcnt lgkmcnt(0)
	s_and_b32 s0, s0, 0x3ff
	s_delay_alu instid0(SALU_CYCLE_1) | instskip(NEXT) | instid1(SALU_CYCLE_1)
	s_bitset1_b32 s0, 10
	s_mov_b32 m0, s0
	s_sendmsg sendmsg(MSG_INTERRUPT)
	s_mov_b32 m0, ttmp2
.LBB10_474:                             ; =>This Inner Loop Header: Depth=1
	s_sethalt 5
	s_branch .LBB10_474
.Lfunc_end10:
	.size	_ZN12_GLOBAL__N_17runRingIa7FuncSumIaE7ProtoLLLi0ELi4ELi0EEEviiP15ncclDevWorkColl, .Lfunc_end10-_ZN12_GLOBAL__N_17runRingIa7FuncSumIaE7ProtoLLLi0ELi4ELi0EEEviiP15ncclDevWorkColl
                                        ; -- End function
	.section	.AMDGPU.csdata,"",@progbits
; Function info:
; codeLenInByte = 14552
; NumSgprs: 34
; NumVgprs: 134
; ScratchSize: 0
; MemoryBound: 1
	.text
	.p2align	2                               ; -- Begin function _Z42ncclDevFunc_Broadcast_RING_LL_Sum_i8_0_0_4v
	.type	_Z42ncclDevFunc_Broadcast_RING_LL_Sum_i8_0_0_4v,@function
_Z42ncclDevFunc_Broadcast_RING_LL_Sum_i8_0_0_4v: ; @_Z42ncclDevFunc_Broadcast_RING_LL_Sum_i8_0_0_4v
; %bb.0:
	s_waitcnt vmcnt(0) expcnt(0) lgkmcnt(0)
	s_mov_b32 s0, s33
	s_mov_b32 s33, s32
	s_or_saveexec_b32 s1, -1
	scratch_store_b32 off, v40, s33         ; 4-byte Folded Spill
	s_mov_b32 exec_lo, s1
	v_writelane_b32 v40, s0, 6
	s_add_i32 s32, s32, 16
	v_writelane_b32 v40, s34, 0
	v_writelane_b32 v40, s35, 1
	;; [unrolled: 1-line block ×6, first 2 shown]
	s_cbranch_execnz .LBB11_13
; %bb.1:
	ds_load_b32 v0, v0
	s_waitcnt lgkmcnt(0)
	v_cmp_gt_i32_e32 vcc_lo, 1, v0
	s_cbranch_vccnz .LBB11_12
; %bb.2:
	v_and_b32_e32 v134, 0x3ff, v31
	s_mov_b32 s36, 0
	s_mov_b64 s[34:35], src_shared_base
.LBB11_3:                               ; =>This Inner Loop Header: Depth=1
	s_cbranch_execnz .LBB11_15
; %bb.4:                                ;   in Loop: Header=BB11_3 Depth=1
	ds_load_b32 v0, v0
	s_cmp_eq_u32 s36, 0
	s_cbranch_scc1 .LBB11_8
; %bb.5:                                ;   in Loop: Header=BB11_3 Depth=1
	s_cbranch_execnz .LBB11_19
; %bb.6:                                ;   in Loop: Header=BB11_3 Depth=1
	s_waitcnt lgkmcnt(0)
	ds_load_b32 v1, v0
	s_waitcnt lgkmcnt(0)
	v_xor_b32_e32 v1, v1, v0
	s_delay_alu instid0(VALU_DEP_1) | instskip(NEXT) | instid1(VALU_DEP_1)
	v_and_b32_e32 v1, 0xff0000, v1
	v_cmp_eq_u32_e32 vcc_lo, 0, v1
	s_cbranch_vccnz .LBB11_8
; %bb.7:                                ;   in Loop: Header=BB11_3 Depth=1
	s_waitcnt_vscnt null, 0x0
	s_barrier
	buffer_gl0_inv
	ds_load_b32 v0, v0
.LBB11_8:                               ;   in Loop: Header=BB11_3 Depth=1
	s_waitcnt lgkmcnt(0)
	v_lshrrev_b32_e32 v0, 11, v0
	s_mov_b32 s37, exec_lo
	s_delay_alu instid0(VALU_DEP_1) | instskip(NEXT) | instid1(VALU_DEP_1)
	v_and_b32_e32 v1, 0x1fe0, v0
	v_cmpx_lt_u32_e64 v134, v1
	s_cbranch_execz .LBB11_10
; %bb.9:                                ;   in Loop: Header=BB11_3 Depth=1
	v_dual_mov_b32 v135, v31 :: v_dual_mov_b32 v0, v134
	v_mov_b32_e32 v3, s35
	s_getpc_b64 s[0:1]
	s_add_u32 s0, s0, _ZN12_GLOBAL__N_17runRingIa7FuncSumIaE7ProtoLLLi0ELi4ELi0EEEviiP15ncclDevWorkColl@rel32@lo+4
	s_addc_u32 s1, s1, _ZN12_GLOBAL__N_17runRingIa7FuncSumIaE7ProtoLLLi0ELi4ELi0EEEviiP15ncclDevWorkColl@rel32@hi+12
	s_mov_b64 s[28:29], s[8:9]
	s_mov_b32 s34, s12
	s_swappc_b64 s[30:31], s[0:1]
	v_mov_b32_e32 v31, v135
	s_mov_b32 s12, s34
	s_mov_b64 s[8:9], s[28:29]
.LBB11_10:                              ;   in Loop: Header=BB11_3 Depth=1
	s_or_b32 exec_lo, exec_lo, s37
	s_cbranch_execnz .LBB11_17
; %bb.11:                               ;   in Loop: Header=BB11_3 Depth=1
	ds_load_b32 v0, v0
	s_add_i32 s36, s36, 1
	s_waitcnt lgkmcnt(0)
	v_cmp_lt_i32_e32 vcc_lo, s36, v0
	s_cbranch_vccnz .LBB11_3
.LBB11_12:
	v_readlane_b32 s30, v40, 4
	v_readlane_b32 s31, v40, 5
	;; [unrolled: 1-line block ×7, first 2 shown]
	s_or_saveexec_b32 s1, -1
	scratch_load_b32 v40, off, s33          ; 4-byte Folded Reload
	s_mov_b32 exec_lo, s1
	s_add_i32 s32, s32, -16
	s_mov_b32 s33, s0
	s_waitcnt vmcnt(0)
	s_setpc_b64 s[30:31]
.LBB11_13:
	s_trap 2
	s_sendmsg_rtn_b32 s0, sendmsg(MSG_RTN_GET_DOORBELL)
	s_mov_b32 ttmp2, m0
	s_waitcnt lgkmcnt(0)
	s_and_b32 s0, s0, 0x3ff
	s_delay_alu instid0(SALU_CYCLE_1) | instskip(NEXT) | instid1(SALU_CYCLE_1)
	s_bitset1_b32 s0, 10
	s_mov_b32 m0, s0
	s_sendmsg sendmsg(MSG_INTERRUPT)
	s_mov_b32 m0, ttmp2
.LBB11_14:                              ; =>This Inner Loop Header: Depth=1
	s_sethalt 5
	s_branch .LBB11_14
.LBB11_15:
	s_trap 2
	s_sendmsg_rtn_b32 s0, sendmsg(MSG_RTN_GET_DOORBELL)
	s_mov_b32 ttmp2, m0
	s_waitcnt lgkmcnt(0)
	s_and_b32 s0, s0, 0x3ff
	s_delay_alu instid0(SALU_CYCLE_1) | instskip(NEXT) | instid1(SALU_CYCLE_1)
	s_bitset1_b32 s0, 10
	s_mov_b32 m0, s0
	s_sendmsg sendmsg(MSG_INTERRUPT)
	s_mov_b32 m0, ttmp2
.LBB11_16:                              ; =>This Inner Loop Header: Depth=1
	s_sethalt 5
	s_branch .LBB11_16
.LBB11_17:
	s_trap 2
	s_sendmsg_rtn_b32 s0, sendmsg(MSG_RTN_GET_DOORBELL)
	s_mov_b32 ttmp2, m0
	s_waitcnt lgkmcnt(0)
	s_and_b32 s0, s0, 0x3ff
	s_delay_alu instid0(SALU_CYCLE_1) | instskip(NEXT) | instid1(SALU_CYCLE_1)
	s_bitset1_b32 s0, 10
	s_mov_b32 m0, s0
	s_sendmsg sendmsg(MSG_INTERRUPT)
	s_mov_b32 m0, ttmp2
.LBB11_18:                              ; =>This Inner Loop Header: Depth=1
	s_sethalt 5
	s_branch .LBB11_18
.LBB11_19:
	s_trap 2
	s_sendmsg_rtn_b32 s0, sendmsg(MSG_RTN_GET_DOORBELL)
	s_mov_b32 ttmp2, m0
	s_waitcnt lgkmcnt(0)
	s_and_b32 s0, s0, 0x3ff
	s_delay_alu instid0(SALU_CYCLE_1) | instskip(NEXT) | instid1(SALU_CYCLE_1)
	s_bitset1_b32 s0, 10
	s_mov_b32 m0, s0
	s_sendmsg sendmsg(MSG_INTERRUPT)
	s_mov_b32 m0, ttmp2
.LBB11_20:                              ; =>This Inner Loop Header: Depth=1
	s_sethalt 5
	s_branch .LBB11_20
.Lfunc_end11:
	.size	_Z42ncclDevFunc_Broadcast_RING_LL_Sum_i8_0_0_4v, .Lfunc_end11-_Z42ncclDevFunc_Broadcast_RING_LL_Sum_i8_0_0_4v
                                        ; -- End function
	.section	.AMDGPU.csdata,"",@progbits
; Function info:
; codeLenInByte = 636
; NumSgprs: 40
; NumVgprs: 136
; ScratchSize: 16
; MemoryBound: 0
	.text
	.p2align	2                               ; -- Begin function _ZN12_GLOBAL__N_17runRingIa7FuncSumIaE11ProtoSimpleILi1ELi1ELi0ELi4ELi0ELi0EELi0ELi4ELi0EEEviiP15ncclDevWorkColl
	.type	_ZN12_GLOBAL__N_17runRingIa7FuncSumIaE11ProtoSimpleILi1ELi1ELi0ELi4ELi0ELi0EELi0ELi4ELi0EEEviiP15ncclDevWorkColl,@function
_ZN12_GLOBAL__N_17runRingIa7FuncSumIaE11ProtoSimpleILi1ELi1ELi0ELi4ELi0ELi0EELi0ELi4ELi0EEEviiP15ncclDevWorkColl: ; @_ZN12_GLOBAL__N_17runRingIa7FuncSumIaE11ProtoSimpleILi1ELi1ELi0ELi4ELi0ELi0EELi0ELi4ELi0EEEviiP15ncclDevWorkColl
; %bb.0:
	s_waitcnt vmcnt(0) expcnt(0) lgkmcnt(0)
	s_mov_b32 s0, s33
	s_mov_b32 s33, s32
	s_or_saveexec_b32 s1, -1
	s_clause 0x1
	scratch_store_b32 off, v88, s33 offset:96
	; meta instruction
	scratch_store_b32 off, v89, s33 offset:100
	s_mov_b32 exec_lo, s1
	v_writelane_b32 v88, s0, 9
	s_addk_i32 s32, 0x70
	s_clause 0x17
	scratch_store_b32 off, v40, s33 offset:92
	; meta instruction
	scratch_store_b32 off, v41, s33 offset:88
	; meta instruction
	;; [unrolled: 2-line block ×23, first 2 shown]
	scratch_store_b32 off, v79, s33
	v_writelane_b32 v88, s34, 0
	v_writelane_b32 v88, s35, 1
	v_writelane_b32 v88, s36, 2
	v_writelane_b32 v88, s37, 3
	v_writelane_b32 v88, s38, 4
	v_writelane_b32 v88, s39, 5
	v_writelane_b32 v88, s40, 6
	v_writelane_b32 v88, s30, 7
	v_writelane_b32 v88, s31, 8
	s_cbranch_execnz .LBB12_15
; %bb.1:
	ds_load_b64 v[4:5], v0
	s_clause 0x1
	flat_load_b64 v[16:17], v[2:3]
	flat_load_u16 v9, v[2:3] offset:8
	ds_load_b32 v6, v0
	s_mov_b32 s0, exec_lo
                                        ; implicit-def: $vgpr34_vgpr35
                                        ; implicit-def: $vgpr14_vgpr15
	s_waitcnt lgkmcnt(3)
	flat_load_b64 v[32:33], v[4:5]
                                        ; implicit-def: $vgpr4_vgpr5
	s_waitcnt vmcnt(2) lgkmcnt(3)
	v_dual_mov_b32 v8, v17 :: v_dual_and_b32 v7, 0xff, v16
	s_waitcnt lgkmcnt(1)
	s_delay_alu instid0(VALU_DEP_1)
	v_cmpx_ne_u32_e64 v7, v6
	s_xor_b32 s0, exec_lo, s0
	s_cbranch_execz .LBB12_7
; %bb.2:
	v_bfe_u32 v11, v16, 8, 8
	v_not_b32_e32 v10, v7
	s_mov_b32 s1, exec_lo
                                        ; implicit-def: $vgpr34_vgpr35
                                        ; implicit-def: $vgpr4_vgpr5
                                        ; implicit-def: $vgpr14_vgpr15
	s_delay_alu instid0(VALU_DEP_2)
	v_cmpx_ne_u32_e64 v11, v6
	s_xor_b32 s1, exec_lo, s1
	s_cbranch_execz .LBB12_4
; %bb.3:
	s_clause 0x1
	flat_load_b128 v[17:20], v[2:3] offset:72
	flat_load_b64 v[4:5], v[2:3] offset:96
	v_add_nc_u32_e32 v6, v6, v10
                                        ; implicit-def: $vgpr11
                                        ; implicit-def: $vgpr10
	s_waitcnt vmcnt(0) lgkmcnt(0)
	v_lshrrev_b64 v[34:35], 21, v[4:5]
	v_dual_mov_b32 v4, v19 :: v_dual_mov_b32 v5, v20
	s_delay_alu instid0(VALU_DEP_3) | instskip(SKIP_2) | instid1(VALU_DEP_3)
	v_ashrrev_i32_e32 v7, 31, v6
	v_mad_u64_u32 v[14:15], null, v19, v6, v[17:18]
	v_mul_lo_u32 v6, v20, v6
	v_mul_lo_u32 v7, v19, v7
	s_delay_alu instid0(VALU_DEP_1)
	v_add3_u32 v15, v6, v15, v7
.LBB12_4:
	s_and_not1_saveexec_b32 s1, s1
	s_cbranch_execz .LBB12_6
; %bb.5:
	s_clause 0x1
	flat_load_b128 v[17:20], v[2:3] offset:72
	flat_load_b128 v[4:7], v[2:3] offset:88
	s_waitcnt vmcnt(0) lgkmcnt(0)
	v_add_nc_u32_e32 v6, v11, v10
	s_delay_alu instid0(VALU_DEP_1) | instskip(NEXT) | instid1(VALU_DEP_1)
	v_ashrrev_i32_e32 v10, 31, v6
	v_mul_lo_u32 v10, v19, v10
	v_mad_u64_u32 v[14:15], null, v19, v6, v[17:18]
	v_mul_lo_u32 v6, v20, v6
	v_lshrrev_b32_e32 v34, 10, v7
	s_delay_alu instid0(VALU_DEP_2)
	v_add3_u32 v15, v6, v15, v10
.LBB12_6:
	s_or_b32 exec_lo, exec_lo, s1
.LBB12_7:
	s_and_not1_saveexec_b32 s0, s0
; %bb.8:
	s_clause 0x1
	flat_load_b64 v[4:5], v[2:3] offset:72
	flat_load_b64 v[34:35], v[2:3] offset:96
	v_mov_b32_e32 v14, 0
	v_mov_b32_e32 v15, 0
; %bb.9:
	s_or_b32 exec_lo, exec_lo, s0
	flat_load_b128 v[10:13], v[2:3] offset:16
	v_and_b32_e32 v6, 0x44000000, v16
	v_bfe_u32 v37, v8, 1, 30
	s_mov_b32 s0, exec_lo
	s_delay_alu instid0(VALU_DEP_2) | instskip(NEXT) | instid1(VALU_DEP_1)
	v_cmp_eq_u32_e64 s14, 0x44000000, v6
	v_cndmask_b32_e64 v30, v1, 32, s14
	s_delay_alu instid0(VALU_DEP_1)
	v_cmpx_ge_i32_e64 v0, v30
	s_xor_b32 s1, exec_lo, s0
	s_cbranch_execz .LBB12_43
; %bb.10:
	s_waitcnt vmcnt(0) lgkmcnt(0)
	v_cmp_ne_u64_e32 vcc_lo, v[12:13], v[10:11]
	v_cmp_eq_u32_e64 s0, v32, v37
	s_delay_alu instid0(VALU_DEP_1) | instskip(NEXT) | instid1(SALU_CYCLE_1)
	s_and_b32 s0, vcc_lo, s0
	s_and_saveexec_b32 s2, s0
	s_cbranch_execz .LBB12_42
; %bb.11:
	v_sub_nc_u32_e32 v8, v0, v30
	v_add_co_u32 v2, vcc_lo, v12, v14
	v_add_co_ci_u32_e32 v3, vcc_lo, v13, v15, vcc_lo
	s_delay_alu instid0(VALU_DEP_3) | instskip(SKIP_2) | instid1(VALU_DEP_2)
	v_ashrrev_i32_e32 v0, 31, v8
	s_mov_b32 s0, exec_lo
	v_mov_b32_e32 v7, 0
	v_lshrrev_b32_e32 v0, 27, v0
	s_delay_alu instid0(VALU_DEP_1) | instskip(NEXT) | instid1(VALU_DEP_1)
	v_add_nc_u32_e32 v0, v8, v0
	v_and_b32_e32 v6, 0xffffffe0, v0
	s_delay_alu instid0(VALU_DEP_1) | instskip(SKIP_2) | instid1(VALU_DEP_3)
	v_sub_nc_u32_e32 v19, v8, v6
	v_add_co_u32 v6, vcc_lo, v10, v14
	v_add_co_ci_u32_e32 v16, vcc_lo, v11, v15, vcc_lo
	v_cmpx_gt_i32_e32 1, v19
; %bb.12:
	s_delay_alu instid0(VALU_DEP_3) | instskip(NEXT) | instid1(VALU_DEP_1)
	v_or_b32_e32 v7, v2, v6
	v_and_b32_e32 v7, 15, v7
	s_delay_alu instid0(VALU_DEP_1)
	v_cmp_ne_u32_e32 vcc_lo, 0, v7
	v_cndmask_b32_e64 v7, 0, 1, vcc_lo
; %bb.13:
	s_or_b32 exec_lo, exec_lo, s0
	;;#ASMSTART
	;;#ASMEND
	s_delay_alu instid0(VALU_DEP_1)
	v_cmp_ne_u32_e32 vcc_lo, 0, v7
	v_ashrrev_i32_e32 v9, 5, v0
	v_sub_nc_u32_e32 v18, v1, v30
	s_cbranch_vccz .LBB12_17
; %bb.14:
	v_mov_b32_e32 v0, 0
	v_mov_b32_e32 v1, 0
	s_mov_b32 s0, -1
	s_delay_alu instid0(SALU_CYCLE_1)
	s_and_b32 exec_lo, exec_lo, s0
	s_cbranch_execnz .LBB12_34
	s_branch .LBB12_42
.LBB12_15:
	s_trap 2
	s_sendmsg_rtn_b32 s0, sendmsg(MSG_RTN_GET_DOORBELL)
	s_mov_b32 ttmp2, m0
	s_waitcnt lgkmcnt(0)
	s_and_b32 s0, s0, 0x3ff
	s_delay_alu instid0(SALU_CYCLE_1) | instskip(NEXT) | instid1(SALU_CYCLE_1)
	s_bitset1_b32 s0, 10
	s_mov_b32 m0, s0
	s_sendmsg sendmsg(MSG_INTERRUPT)
	s_mov_b32 m0, ttmp2
.LBB12_16:                              ; =>This Inner Loop Header: Depth=1
	s_sethalt 5
	s_branch .LBB12_16
.LBB12_17:
	v_ashrrev_i32_e32 v0, 31, v5
	s_delay_alu instid0(VALU_DEP_3) | instskip(SKIP_1) | instid1(VALU_DEP_2)
	v_ashrrev_i32_e32 v8, 31, v9
	s_mov_b32 s0, exec_lo
	v_lshrrev_b32_e32 v0, 20, v0
	s_delay_alu instid0(VALU_DEP_1) | instskip(SKIP_1) | instid1(VALU_DEP_1)
	v_add_co_u32 v0, vcc_lo, v4, v0
	v_add_co_ci_u32_e32 v1, vcc_lo, 0, v5, vcc_lo
	v_ashrrev_i64 v[0:1], 12, v[0:1]
	s_delay_alu instid0(VALU_DEP_1) | instskip(NEXT) | instid1(VALU_DEP_2)
	v_sub_co_u32 v7, vcc_lo, v0, v9
	v_sub_co_ci_u32_e32 v8, vcc_lo, v1, v8, vcc_lo
	s_delay_alu instid0(VALU_DEP_1)
	v_cmpx_lt_i64_e32 0, v[7:8]
	s_cbranch_execz .LBB12_21
; %bb.18:
	v_ashrrev_i32_e32 v17, 31, v18
	v_lshlrev_b32_e32 v20, 4, v19
	s_mov_b32 s3, 0
	s_delay_alu instid0(VALU_DEP_2) | instskip(NEXT) | instid1(VALU_DEP_2)
	v_lshrrev_b32_e32 v17, 27, v17
	v_lshl_add_u32 v9, v9, 12, v20
	s_delay_alu instid0(VALU_DEP_2) | instskip(NEXT) | instid1(VALU_DEP_2)
	v_add_nc_u32_e32 v17, v18, v17
	v_ashrrev_i32_e32 v20, 31, v9
	s_delay_alu instid0(VALU_DEP_2) | instskip(NEXT) | instid1(VALU_DEP_1)
	v_ashrrev_i32_e32 v17, 5, v17
	v_lshl_add_u32 v22, v17, 12, 0xfffff000
	v_ashrrev_i32_e32 v21, 31, v17
	s_delay_alu instid0(VALU_DEP_2) | instskip(SKIP_1) | instid1(VALU_DEP_2)
	v_ashrrev_i32_e32 v23, 31, v22
	v_add_co_u32 v22, vcc_lo, 0x1000, v22
	v_add_co_ci_u32_e32 v23, vcc_lo, 0, v23, vcc_lo
.LBB12_19:                              ; =>This Inner Loop Header: Depth=1
	v_add_co_u32 v68, vcc_lo, v9, v2
	v_add_co_ci_u32_e32 v69, vcc_lo, v20, v3, vcc_lo
	v_add_co_u32 v80, vcc_lo, v9, v6
	v_add_co_ci_u32_e32 v81, vcc_lo, v20, v16, vcc_lo
	s_clause 0x7
	global_load_b128 v[24:27], v[68:69], off slc dlc
	global_load_b128 v[28:31], v[68:69], off offset:512 slc dlc
	global_load_b128 v[32:35], v[68:69], off offset:1024 slc dlc
	;; [unrolled: 1-line block ×7, first 2 shown]
	v_sub_co_u32 v7, vcc_lo, v7, v17
	v_sub_co_ci_u32_e32 v8, vcc_lo, v8, v21, vcc_lo
	v_add_co_u32 v2, vcc_lo, v2, v22
	v_add_co_ci_u32_e32 v3, vcc_lo, v3, v23, vcc_lo
	v_add_co_u32 v6, vcc_lo, v6, v22
	v_add_co_ci_u32_e32 v16, vcc_lo, v16, v23, vcc_lo
	v_cmp_gt_i64_e32 vcc_lo, 1, v[7:8]
	s_waitcnt vmcnt(7)
	global_store_b128 v[80:81], v[24:27], off glc slc dlc
	s_waitcnt vmcnt(6)
	global_store_b128 v[80:81], v[28:31], off offset:512 glc slc dlc
	s_waitcnt vmcnt(5)
	global_store_b128 v[80:81], v[32:35], off offset:1024 glc slc dlc
	;; [unrolled: 2-line block ×7, first 2 shown]
	s_or_b32 s3, vcc_lo, s3
	s_delay_alu instid0(SALU_CYCLE_1)
	s_and_not1_b32 exec_lo, exec_lo, s3
	s_cbranch_execnz .LBB12_19
; %bb.20:
	s_or_b32 exec_lo, exec_lo, s3
.LBB12_21:
	s_delay_alu instid0(SALU_CYCLE_1)
	s_or_b32 exec_lo, exec_lo, s0
	v_lshlrev_b64 v[16:17], 12, v[0:1]
	v_mov_b32_e32 v0, 0
	v_mov_b32_e32 v1, 0
	s_mov_b32 s0, 0
	s_mov_b32 s3, exec_lo
                                        ; implicit-def: $vgpr8
                                        ; implicit-def: $vgpr9
	s_delay_alu instid0(VALU_DEP_3)
	v_cmpx_ne_u64_e64 v[4:5], v[16:17]
	s_cbranch_execz .LBB12_33
; %bb.22:
	v_sub_co_u32 v20, vcc_lo, v4, v16
	v_sub_co_ci_u32_e32 v21, vcc_lo, v5, v17, vcc_lo
	v_mov_b32_e32 v1, 0
	s_delay_alu instid0(VALU_DEP_2) | instskip(NEXT) | instid1(VALU_DEP_1)
	v_ashrrev_i32_e32 v0, 31, v21
	v_lshrrev_b32_e32 v0, 23, v0
	s_delay_alu instid0(VALU_DEP_1) | instskip(SKIP_1) | instid1(VALU_DEP_2)
	v_add_co_u32 v5, vcc_lo, v20, v0
	v_add_co_ci_u32_e32 v6, vcc_lo, 0, v21, vcc_lo
	v_and_b32_e32 v0, 0xfffffe00, v5
	s_delay_alu instid0(VALU_DEP_2) | instskip(NEXT) | instid1(VALU_DEP_2)
	v_ashrrev_i64 v[8:9], 9, v[5:6]
	v_sub_co_u32 v2, vcc_lo, v20, v0
	v_add_co_u32 v5, s0, v0, v16
	v_sub_co_ci_u32_e32 v3, vcc_lo, v21, v6, vcc_lo
	v_add_co_ci_u32_e64 v6, s0, v6, v17, s0
	s_mov_b32 s0, exec_lo
	s_delay_alu instid0(VALU_DEP_2)
	v_cmpx_lt_i64_e32 15, v[2:3]
; %bb.23:
	v_and_b32_e32 v0, 15, v4
	s_delay_alu instid0(VALU_DEP_1) | instskip(SKIP_3) | instid1(VALU_DEP_4)
	v_sub_co_u32 v2, vcc_lo, v2, v0
	v_subrev_co_ci_u32_e32 v3, vcc_lo, 0, v3, vcc_lo
	v_add_co_u32 v8, vcc_lo, v8, 1
	v_add_co_ci_u32_e32 v9, vcc_lo, 0, v9, vcc_lo
	v_add_co_u32 v5, vcc_lo, v2, v5
	s_delay_alu instid0(VALU_DEP_4)
	v_add_co_ci_u32_e32 v6, vcc_lo, v3, v6, vcc_lo
	v_dual_mov_b32 v3, v1 :: v_dual_mov_b32 v2, v0
; %bb.24:
	s_or_b32 exec_lo, exec_lo, s0
	v_lshlrev_b32_e32 v0, 5, v7
	s_mov_b32 s4, exec_lo
	s_delay_alu instid0(VALU_DEP_1) | instskip(NEXT) | instid1(VALU_DEP_1)
	v_sub_nc_u32_e32 v0, v19, v0
	v_ashrrev_i32_e32 v1, 31, v0
	s_delay_alu instid0(VALU_DEP_1) | instskip(NEXT) | instid1(VALU_DEP_1)
	v_lshrrev_b32_e32 v1, 27, v1
	v_add_nc_u32_e32 v1, v0, v1
	s_delay_alu instid0(VALU_DEP_1) | instskip(SKIP_1) | instid1(VALU_DEP_2)
	v_and_b32_e32 v4, 0xffffffe0, v1
	v_ashrrev_i32_e32 v7, 5, v1
	v_sub_nc_u32_e32 v4, v0, v4
	s_delay_alu instid0(VALU_DEP_2) | instskip(NEXT) | instid1(VALU_DEP_2)
	v_ashrrev_i32_e32 v19, 31, v7
	v_lshlrev_b32_e32 v0, 4, v4
	s_delay_alu instid0(VALU_DEP_1) | instskip(SKIP_1) | instid1(VALU_DEP_1)
	v_lshl_add_u32 v22, v7, 9, v0
	v_sub_co_u32 v7, s0, v8, v7
	v_sub_co_ci_u32_e64 v8, s0, v9, v19, s0
	s_delay_alu instid0(VALU_DEP_3) | instskip(SKIP_1) | instid1(VALU_DEP_2)
	v_ashrrev_i32_e32 v23, 31, v22
	v_sub_co_u32 v0, vcc_lo, v20, v22
	v_sub_co_ci_u32_e32 v1, vcc_lo, v21, v23, vcc_lo
	s_delay_alu instid0(VALU_DEP_1)
	v_cmpx_lt_i64_e32 15, v[0:1]
	s_cbranch_execz .LBB12_28
; %bb.25:
	v_ashrrev_i32_e32 v9, 31, v18
	v_add_co_u32 v24, vcc_lo, v14, v16
	v_add_co_ci_u32_e32 v25, vcc_lo, v15, v17, vcc_lo
	s_delay_alu instid0(VALU_DEP_3) | instskip(SKIP_1) | instid1(VALU_DEP_1)
	v_lshrrev_b32_e32 v9, 27, v9
	s_mov_b32 s5, 0
	v_add_nc_u32_e32 v9, v18, v9
	s_delay_alu instid0(VALU_DEP_1) | instskip(NEXT) | instid1(VALU_DEP_1)
	v_ashrrev_i32_e32 v9, 5, v9
	v_lshlrev_b32_e32 v19, 9, v9
	v_ashrrev_i32_e32 v16, 31, v9
	s_delay_alu instid0(VALU_DEP_2) | instskip(SKIP_1) | instid1(VALU_DEP_2)
	v_add_nc_u32_e32 v20, 0xfffffe00, v19
	v_ashrrev_i32_e32 v17, 31, v19
	v_ashrrev_i32_e32 v21, 31, v20
	v_add_co_u32 v20, vcc_lo, 0x200, v20
	s_delay_alu instid0(VALU_DEP_2)
	v_add_co_ci_u32_e32 v21, vcc_lo, 0, v21, vcc_lo
	v_add_co_u32 v22, vcc_lo, v24, v22
	v_add_co_ci_u32_e32 v23, vcc_lo, v25, v23, vcc_lo
	.p2align	6
.LBB12_26:                              ; =>This Inner Loop Header: Depth=1
	s_delay_alu instid0(VALU_DEP_2) | instskip(NEXT) | instid1(VALU_DEP_2)
	v_add_co_u32 v24, vcc_lo, v12, v22
	v_add_co_ci_u32_e32 v25, vcc_lo, v13, v23, vcc_lo
	v_add_co_u32 v28, vcc_lo, v10, v22
	v_add_co_ci_u32_e32 v29, vcc_lo, v11, v23, vcc_lo
	global_load_b128 v[24:27], v[24:25], off slc dlc
	v_sub_co_u32 v0, vcc_lo, v0, v19
	v_sub_co_ci_u32_e32 v1, vcc_lo, v1, v17, vcc_lo
	v_sub_co_u32 v7, vcc_lo, v7, v9
	v_sub_co_ci_u32_e32 v8, vcc_lo, v8, v16, vcc_lo
	s_delay_alu instid0(VALU_DEP_3) | instskip(SKIP_1) | instid1(VALU_DEP_1)
	v_cmp_gt_i64_e32 vcc_lo, 16, v[0:1]
	v_add_co_u32 v22, s0, v22, v20
	v_add_co_ci_u32_e64 v23, s0, v23, v21, s0
	s_or_b32 s5, vcc_lo, s5
	s_waitcnt vmcnt(0)
	global_store_b128 v[28:29], v[24:27], off glc slc dlc
	s_and_not1_b32 exec_lo, exec_lo, s5
	s_cbranch_execnz .LBB12_26
; %bb.27:
	s_or_b32 exec_lo, exec_lo, s5
.LBB12_28:
	s_delay_alu instid0(SALU_CYCLE_1) | instskip(NEXT) | instid1(SALU_CYCLE_1)
	s_or_b32 exec_lo, exec_lo, s4
	s_mov_b32 s0, exec_lo
	v_cmpx_lt_i64_e32 0, v[7:8]
; %bb.29:
	v_ashrrev_i32_e32 v0, 31, v18
	s_delay_alu instid0(VALU_DEP_1) | instskip(NEXT) | instid1(VALU_DEP_1)
	v_lshrrev_b32_e32 v0, 27, v0
	v_add_nc_u32_e32 v0, v18, v0
	s_delay_alu instid0(VALU_DEP_1) | instskip(NEXT) | instid1(VALU_DEP_1)
	v_ashrrev_i32_e32 v0, 5, v0
	v_sub_co_u32 v7, vcc_lo, v7, v0
; %bb.30:
	s_or_b32 exec_lo, exec_lo, s0
	v_mov_b32_e32 v0, 0
	v_mov_b32_e32 v1, 0
	s_mov_b32 s0, 0
	s_mov_b32 s4, exec_lo
                                        ; implicit-def: $vgpr8
                                        ; implicit-def: $vgpr9
	v_cmpx_ne_u64_e32 0, v[2:3]
; %bb.31:
	v_lshlrev_b32_e32 v0, 5, v7
	s_mov_b32 s0, exec_lo
	s_delay_alu instid0(VALU_DEP_1) | instskip(NEXT) | instid1(VALU_DEP_1)
	v_sub_nc_u32_e32 v8, v4, v0
	v_ashrrev_i32_e32 v0, 31, v8
	s_delay_alu instid0(VALU_DEP_1) | instskip(NEXT) | instid1(VALU_DEP_1)
	v_lshrrev_b32_e32 v0, 27, v0
	v_add_nc_u32_e32 v0, v8, v0
	s_delay_alu instid0(VALU_DEP_1)
	v_ashrrev_i32_e32 v9, 5, v0
	v_dual_mov_b32 v0, v5 :: v_dual_mov_b32 v1, v6
; %bb.32:
	s_or_b32 exec_lo, exec_lo, s4
	v_dual_mov_b32 v5, v3 :: v_dual_mov_b32 v4, v2
	s_and_b32 s0, s0, exec_lo
.LBB12_33:
	s_or_b32 exec_lo, exec_lo, s3
	s_delay_alu instid0(SALU_CYCLE_1)
	s_and_b32 exec_lo, exec_lo, s0
	s_cbranch_execz .LBB12_42
.LBB12_34:
	v_ashrrev_i32_e32 v2, 31, v5
	s_mov_b32 s0, exec_lo
	s_delay_alu instid0(VALU_DEP_1) | instskip(NEXT) | instid1(VALU_DEP_1)
	v_lshrrev_b32_e32 v2, 22, v2
	v_add_co_u32 v2, vcc_lo, v4, v2
	v_add_co_ci_u32_e32 v3, vcc_lo, 0, v5, vcc_lo
	s_delay_alu instid0(VALU_DEP_1) | instskip(SKIP_1) | instid1(VALU_DEP_2)
	v_ashrrev_i64 v[6:7], 10, v[2:3]
	v_ashrrev_i32_e32 v3, 31, v9
	v_sub_co_u32 v2, vcc_lo, v6, v9
	s_delay_alu instid0(VALU_DEP_2) | instskip(NEXT) | instid1(VALU_DEP_1)
	v_sub_co_ci_u32_e32 v3, vcc_lo, v7, v3, vcc_lo
	v_cmpx_lt_i64_e32 0, v[2:3]
	s_cbranch_execz .LBB12_38
; %bb.35:
	v_ashrrev_i32_e32 v16, 31, v8
	v_ashrrev_i32_e32 v17, 31, v18
	v_add_co_u32 v25, vcc_lo, v14, v0
	v_add_co_ci_u32_e32 v26, vcc_lo, v15, v1, vcc_lo
	s_delay_alu instid0(VALU_DEP_4) | instskip(NEXT) | instid1(VALU_DEP_4)
	v_lshrrev_b32_e32 v16, 27, v16
	v_lshrrev_b32_e32 v17, 27, v17
	s_mov_b32 s3, 0
	s_delay_alu instid0(VALU_DEP_2) | instskip(NEXT) | instid1(VALU_DEP_2)
	v_add_nc_u32_e32 v16, v8, v16
	v_add_nc_u32_e32 v17, v18, v17
	s_delay_alu instid0(VALU_DEP_2) | instskip(NEXT) | instid1(VALU_DEP_2)
	v_and_b32_e32 v19, 0xffffffe0, v16
	v_ashrrev_i32_e32 v16, 5, v17
	s_delay_alu instid0(VALU_DEP_2) | instskip(NEXT) | instid1(VALU_DEP_2)
	v_sub_nc_u32_e32 v17, v8, v19
	v_lshl_add_u32 v23, v16, 10, 0xfffffc00
	v_add_co_u32 v19, vcc_lo, v25, v12
	v_add_co_ci_u32_e32 v20, vcc_lo, v26, v13, vcc_lo
	s_delay_alu instid0(VALU_DEP_3) | instskip(SKIP_3) | instid1(VALU_DEP_4)
	v_ashrrev_i32_e32 v24, 31, v23
	v_lshl_add_u32 v17, v9, 10, v17
	v_add_co_u32 v23, vcc_lo, 0x400, v23
	v_ashrrev_i32_e32 v21, 31, v16
	v_add_co_ci_u32_e32 v24, vcc_lo, 0, v24, vcc_lo
	v_add_co_u32 v25, vcc_lo, v25, v10
	v_ashrrev_i32_e32 v22, 31, v17
	v_add_co_ci_u32_e32 v26, vcc_lo, v26, v11, vcc_lo
.LBB12_36:                              ; =>This Inner Loop Header: Depth=1
	v_add_co_u32 v27, vcc_lo, v17, v19
	s_delay_alu instid0(VALU_DEP_3)
	v_add_co_ci_u32_e32 v28, vcc_lo, v22, v20, vcc_lo
	s_clause 0x1f
	flat_load_u8 v29, v[27:28] slc dlc
	flat_load_u8 v30, v[27:28] offset:32 slc dlc
	flat_load_u8 v31, v[27:28] offset:64 slc dlc
	;; [unrolled: 1-line block ×31, first 2 shown]
	v_add_co_u32 v27, vcc_lo, v17, v25
	v_add_co_ci_u32_e32 v28, vcc_lo, v22, v26, vcc_lo
	v_sub_co_u32 v2, vcc_lo, v2, v16
	v_sub_co_ci_u32_e32 v3, vcc_lo, v3, v21, vcc_lo
	v_add_co_u32 v19, vcc_lo, v19, v23
	v_add_co_ci_u32_e32 v20, vcc_lo, v20, v24, vcc_lo
	v_add_co_u32 v25, vcc_lo, v25, v23
	v_add_co_ci_u32_e32 v26, vcc_lo, v26, v24, vcc_lo
	v_cmp_gt_i64_e32 vcc_lo, 1, v[2:3]
	s_waitcnt vmcnt(31) lgkmcnt(31)
	flat_store_b8 v[27:28], v29 glc slc dlc
	s_waitcnt vmcnt(30) lgkmcnt(31)
	flat_store_b8 v[27:28], v30 offset:32 glc slc dlc
	s_waitcnt vmcnt(29) lgkmcnt(31)
	flat_store_b8 v[27:28], v31 offset:64 glc slc dlc
	;; [unrolled: 2-line block ×31, first 2 shown]
	s_or_b32 s3, vcc_lo, s3
	s_delay_alu instid0(SALU_CYCLE_1)
	s_and_not1_b32 exec_lo, exec_lo, s3
	s_cbranch_execnz .LBB12_36
; %bb.37:
	s_or_b32 exec_lo, exec_lo, s3
.LBB12_38:
	s_delay_alu instid0(SALU_CYCLE_1) | instskip(SKIP_1) | instid1(VALU_DEP_1)
	s_or_b32 exec_lo, exec_lo, s0
	v_lshlrev_b64 v[6:7], 10, v[6:7]
	v_cmp_ne_u64_e32 vcc_lo, v[4:5], v[6:7]
	s_and_b32 exec_lo, exec_lo, vcc_lo
	s_cbranch_execz .LBB12_42
; %bb.39:
	v_lshlrev_b32_e32 v3, 5, v9
	v_lshlrev_b32_e32 v2, 5, v2
	s_delay_alu instid0(VALU_DEP_2) | instskip(NEXT) | instid1(VALU_DEP_1)
	v_sub_nc_u32_e32 v3, v8, v3
	v_sub_nc_u32_e32 v8, v3, v2
	s_delay_alu instid0(VALU_DEP_1) | instskip(SKIP_1) | instid1(VALU_DEP_2)
	v_ashrrev_i32_e32 v9, 31, v8
	v_add_co_u32 v2, vcc_lo, v6, v8
	v_add_co_ci_u32_e32 v3, vcc_lo, v7, v9, vcc_lo
	s_delay_alu instid0(VALU_DEP_2) | instskip(NEXT) | instid1(VALU_DEP_2)
	v_sub_co_u32 v2, vcc_lo, v4, v2
	v_sub_co_ci_u32_e32 v3, vcc_lo, v5, v3, vcc_lo
	s_delay_alu instid0(VALU_DEP_1)
	v_cmp_lt_i64_e32 vcc_lo, 0, v[2:3]
	s_and_b32 exec_lo, exec_lo, vcc_lo
	s_cbranch_execz .LBB12_42
; %bb.40:
	v_ashrrev_i32_e32 v4, 31, v18
	v_add_co_u32 v0, vcc_lo, v14, v0
	v_add_co_ci_u32_e32 v1, vcc_lo, v15, v1, vcc_lo
	s_delay_alu instid0(VALU_DEP_3) | instskip(NEXT) | instid1(VALU_DEP_3)
	v_lshrrev_b32_e32 v4, 27, v4
	v_add_co_u32 v6, vcc_lo, v0, v6
	s_delay_alu instid0(VALU_DEP_3) | instskip(NEXT) | instid1(VALU_DEP_3)
	v_add_co_ci_u32_e32 v7, vcc_lo, v1, v7, vcc_lo
	v_add_nc_u32_e32 v4, v18, v4
	s_mov_b32 s3, 0
	s_delay_alu instid0(VALU_DEP_1) | instskip(NEXT) | instid1(VALU_DEP_1)
	v_and_b32_e32 v4, 0xffffffe0, v4
	v_subrev_nc_u32_e32 v5, 32, v4
	v_ashrrev_i32_e32 v0, 31, v4
	s_delay_alu instid0(VALU_DEP_2) | instskip(SKIP_1) | instid1(VALU_DEP_2)
	v_ashrrev_i32_e32 v14, 31, v5
	v_add_co_u32 v1, vcc_lo, v5, 32
	v_add_co_ci_u32_e32 v5, vcc_lo, 0, v14, vcc_lo
	v_add_co_u32 v6, vcc_lo, v6, v8
	v_add_co_ci_u32_e32 v7, vcc_lo, v7, v9, vcc_lo
	.p2align	6
.LBB12_41:                              ; =>This Inner Loop Header: Depth=1
	s_delay_alu instid0(VALU_DEP_2) | instskip(NEXT) | instid1(VALU_DEP_2)
	v_add_co_u32 v8, vcc_lo, v12, v6
	v_add_co_ci_u32_e32 v9, vcc_lo, v13, v7, vcc_lo
	v_sub_co_u32 v2, vcc_lo, v2, v4
	v_sub_co_ci_u32_e32 v3, vcc_lo, v3, v0, vcc_lo
	flat_load_u8 v14, v[8:9] slc dlc
	v_add_co_u32 v8, vcc_lo, v10, v6
	v_add_co_ci_u32_e32 v9, vcc_lo, v11, v7, vcc_lo
	v_cmp_gt_i64_e32 vcc_lo, 1, v[2:3]
	v_add_co_u32 v6, s0, v6, v1
	s_delay_alu instid0(VALU_DEP_1)
	v_add_co_ci_u32_e64 v7, s0, v7, v5, s0
	s_or_b32 s3, vcc_lo, s3
	s_waitcnt vmcnt(0) lgkmcnt(0)
	flat_store_b8 v[8:9], v14 glc slc dlc
	s_and_not1_b32 exec_lo, exec_lo, s3
	s_cbranch_execnz .LBB12_41
.LBB12_42:
	s_or_b32 exec_lo, exec_lo, s2
                                        ; implicit-def: $vgpr32_vgpr33
                                        ; implicit-def: $vgpr14_vgpr15
                                        ; implicit-def: $vgpr4_vgpr5
                                        ; implicit-def: $vgpr34_vgpr35
                                        ; implicit-def: $vgpr37
                                        ; implicit-def: $vgpr10_vgpr11
                                        ; implicit-def: $vgpr30
                                        ; implicit-def: $vgpr0
                                        ; implicit-def: $vgpr31
                                        ; implicit-def: $vgpr8_vgpr9
                                        ; implicit-def: $vgpr2_vgpr3
.LBB12_43:
	s_and_not1_saveexec_b32 s21, s1
	s_cbranch_execz .LBB12_1436
; %bb.44:
	s_cbranch_execnz .LBB12_92
; %bb.45:
	ds_load_b64 v[6:7], v0
	s_mov_b32 s1, exec_lo
	s_waitcnt lgkmcnt(0)
	v_cmp_ne_u32_e32 vcc_lo, -1, v6
	v_cndmask_b32_e64 v1, 0, 1, vcc_lo
	v_cmp_ne_u32_e32 vcc_lo, -1, v7
	s_delay_alu instid0(VALU_DEP_2) | instskip(NEXT) | instid1(VALU_DEP_1)
	v_add_co_ci_u32_e64 v6, s0, 0, v1, vcc_lo
	v_lshlrev_b32_e32 v7, 1, v6
	s_delay_alu instid0(VALU_DEP_1)
	v_cmpx_le_i32_e64 v7, v30
	s_xor_b32 s20, exec_lo, s1
	s_cbranch_execz .LBB12_1433
; %bb.46:
	flat_load_b64 v[26:27], v[2:3] offset:104
	s_cbranch_execnz .LBB12_94
; %bb.47:
	s_load_b32 s0, s[8:9], 0x0
	v_dual_mov_b32 v7, 0 :: v_dual_mov_b32 v48, 4
	s_waitcnt lgkmcnt(0)
	s_cmp_lt_u32 s12, s0
	s_cselect_b32 s0, 12, 18
	s_delay_alu instid0(SALU_CYCLE_1)
	s_add_u32 s0, s8, s0
	s_addc_u32 s1, s9, 0
	global_load_u16 v38, v7, s[0:1]
	ds_load_b32 v7, v0
	s_mov_b32 s1, exec_lo
	s_waitcnt lgkmcnt(0)
	v_readfirstlane_b32 s3, v7
	v_cmpx_ge_i32_e64 v0, v1
	s_cbranch_execz .LBB12_57
; %bb.48:
	v_cmp_le_u32_e64 s0, v6, v0
                                        ; implicit-def: $vgpr48
	s_delay_alu instid0(VALU_DEP_1) | instskip(NEXT) | instid1(SALU_CYCLE_1)
	s_and_saveexec_b32 s2, s0
	s_xor_b32 s0, exec_lo, s2
	s_cbranch_execz .LBB12_54
; %bb.49:
	v_cndmask_b32_e64 v7, 0, 1, vcc_lo
	s_mov_b32 s2, exec_lo
                                        ; implicit-def: $sgpr4
	s_delay_alu instid0(VALU_DEP_1) | instskip(NEXT) | instid1(VALU_DEP_1)
	v_sub_nc_u32_e32 v7, v30, v7
	v_cmpx_ge_u32_e64 v0, v7
	s_xor_b32 s2, exec_lo, s2
; %bb.50:
	s_mov_b32 s4, 16
                                        ; implicit-def: $vgpr6
; %bb.51:
	s_or_saveexec_b32 s2, s2
	v_mov_b32_e32 v48, s4
	s_xor_b32 exec_lo, exec_lo, s2
; %bb.52:
	v_sub_nc_u32_e32 v6, v30, v6
	s_delay_alu instid0(VALU_DEP_1) | instskip(SKIP_1) | instid1(VALU_DEP_1)
	v_cmp_ge_i32_e32 vcc_lo, v0, v6
	v_cndmask_b32_e64 v6, 0, 1, vcc_lo
	v_lshlrev_b32_e32 v48, 5, v6
; %bb.53:
	s_or_b32 exec_lo, exec_lo, s2
.LBB12_54:
	s_and_not1_saveexec_b32 s0, s0
; %bb.55:
	v_mov_b32_e32 v48, 8
; %bb.56:
	s_or_b32 exec_lo, exec_lo, s0
.LBB12_57:
	s_delay_alu instid0(SALU_CYCLE_1) | instskip(SKIP_1) | instid1(VALU_DEP_1)
	s_or_b32 exec_lo, exec_lo, s1
	s_waitcnt vmcnt(3)
	v_dual_mov_b32 v35, -1 :: v_dual_and_b32 v6, 36, v48
	s_delay_alu instid0(VALU_DEP_1)
	v_cmp_ne_u32_e32 vcc_lo, 0, v6
	s_and_saveexec_b32 s0, vcc_lo
	s_cbranch_execz .LBB12_60
; %bb.58:
	s_cbranch_execnz .LBB12_96
; %bb.59:
	ds_load_b32 v35, v0
.LBB12_60:
	s_or_b32 exec_lo, exec_lo, s0
	v_and_b32_e32 v6, 24, v48
	s_mov_b32 s1, exec_lo
	s_delay_alu instid0(VALU_DEP_1)
	v_cmpx_ne_u32_e32 0, v6
	s_cbranch_execz .LBB12_63
; %bb.61:
	s_cbranch_execnz .LBB12_98
; %bb.62:
	s_waitcnt lgkmcnt(0)
	ds_load_b32 v35, v0
.LBB12_63:
	s_or_b32 exec_lo, exec_lo, s1
	v_lshrrev_b64 v[6:7], 31, v[8:9]
	v_mov_b32_e32 v18, 0
	v_mov_b32_e32 v19, 0
                                        ; implicit-def: $vgpr16_vgpr17
                                        ; implicit-def: $vgpr49
                                        ; implicit-def: $vgpr22_vgpr23
                                        ; implicit-def: $vgpr28_vgpr29
                                        ; implicit-def: $vgpr20_vgpr21
	s_delay_alu instid0(VALU_DEP_2) | instskip(NEXT) | instid1(VALU_DEP_2)
	v_dual_mov_b32 v6, v18 :: v_dual_and_b32 v39, 3, v6
	v_mov_b32_e32 v7, v19
	s_and_saveexec_b32 s0, vcc_lo
	s_cbranch_execz .LBB12_76
; %bb.64:
	s_cbranch_execnz .LBB12_100
; %bb.65:
	ds_load_b64 v[6:7], v0
	s_waitcnt lgkmcnt(1)
	v_ashrrev_i32_e32 v36, 31, v35
	v_and_b32_e32 v16, 0xffff, v39
	s_mov_b32 s1, exec_lo
	s_delay_alu instid0(VALU_DEP_2) | instskip(SKIP_1) | instid1(VALU_DEP_1)
	v_lshlrev_b64 v[8:9], 3, v[35:36]
	s_waitcnt lgkmcnt(0)
	v_add_co_u32 v6, vcc_lo, v6, v8
	s_delay_alu instid0(VALU_DEP_2)
	v_add_co_ci_u32_e32 v7, vcc_lo, v7, v9, vcc_lo
	flat_load_b64 v[6:7], v[6:7]
	s_waitcnt vmcnt(0) lgkmcnt(0)
	v_mad_u64_u32 v[8:9], null, 0xa8, v16, v[6:7]
                                        ; implicit-def: $vgpr16_vgpr17
	flat_load_b32 v6, v[8:9] offset:640
	v_add_co_u32 v18, vcc_lo, 0x1f8, v8
	v_add_co_ci_u32_e32 v19, vcc_lo, 0, v9, vcc_lo
	s_waitcnt vmcnt(0) lgkmcnt(0)
	v_cmpx_eq_u32_e32 1, v6
	s_cbranch_execz .LBB12_68
; %bb.66:
	flat_load_b64 v[16:17], v[18:19] offset:144
	s_waitcnt vmcnt(0) lgkmcnt(0)
	flat_load_b64 v[6:7], v[16:17]
	s_cbranch_execnz .LBB12_1161
; %bb.67:
	s_waitcnt vmcnt(0) lgkmcnt(0)
	ds_store_b64 v0, v[6:7]
	flat_load_b64 v[6:7], v[16:17] offset:8
	v_or_b32_e32 v48, 0x2000, v48
	s_waitcnt vmcnt(0) lgkmcnt(0)
	ds_store_b64 v0, v[6:7]
	flat_load_b64 v[6:7], v[16:17] offset:16
	s_waitcnt vmcnt(0) lgkmcnt(0)
	ds_store_b64 v0, v[6:7]
.LBB12_68:
	s_or_b32 exec_lo, exec_lo, s1
	flat_load_b64 v[8:9], v[18:19] offset:104
	v_and_b32_e32 v6, 32, v48
	s_mov_b32 s1, exec_lo
                                        ; implicit-def: $vgpr20_vgpr21
	s_delay_alu instid0(VALU_DEP_1)
	v_cmpx_ne_u32_e32 0, v6
	s_cbranch_execz .LBB12_70
; %bb.69:
	flat_load_b64 v[20:21], v[18:19] offset:56
	s_waitcnt vmcnt(0) lgkmcnt(0)
	s_waitcnt_vscnt null, 0x0
	flat_store_b64 v[20:21], v[8:9]
.LBB12_70:
	s_or_b32 exec_lo, exec_lo, s1
	v_and_b32_e32 v22, 4, v48
	v_mov_b32_e32 v6, 0
	v_mov_b32_e32 v7, 0
                                        ; implicit-def: $vgpr49
                                        ; implicit-def: $vgpr28_vgpr29
	s_delay_alu instid0(VALU_DEP_3)
	v_cmp_ne_u32_e32 vcc_lo, 0, v22
                                        ; implicit-def: $vgpr22_vgpr23
	s_and_saveexec_b32 s1, vcc_lo
	s_cbranch_execz .LBB12_75
; %bb.71:
	v_and_b32_e32 v6, 0x800, v48
	s_mov_b32 s2, exec_lo
	s_delay_alu instid0(VALU_DEP_1)
	v_cmpx_eq_u32_e32 0, v6
	s_cbranch_execz .LBB12_74
; %bb.72:
	s_cbranch_execnz .LBB12_1163
; %bb.73:
	ds_store_b64 v0, v[18:19]
.LBB12_74:
	s_or_b32 exec_lo, exec_lo, s2
	flat_load_b64 v[20:21], v[18:19] offset:48
	v_or_b32_e32 v24, 0x100, v48
	s_waitcnt vmcnt(0) lgkmcnt(0)
	flat_load_b64 v[28:29], v[20:21] glc
	s_clause 0x2
	flat_load_b64 v[6:7], v[18:19] offset:96
	flat_load_b32 v49, v[18:19] offset:72
	flat_load_b64 v[22:23], v[18:19] offset:16
	s_waitcnt vmcnt(2) lgkmcnt(2)
	v_cmp_eq_u64_e32 vcc_lo, 0, v[6:7]
	v_cndmask_b32_e32 v48, v24, v48, vcc_lo
.LBB12_75:
	s_or_b32 exec_lo, exec_lo, s1
.LBB12_76:
	s_delay_alu instid0(SALU_CYCLE_1) | instskip(NEXT) | instid1(VALU_DEP_1)
	s_or_b32 exec_lo, exec_lo, s0
	v_and_b32_e32 v24, 24, v48
	s_delay_alu instid0(VALU_DEP_1)
	v_cmp_ne_u32_e32 vcc_lo, 0, v24
                                        ; implicit-def: $vgpr24_vgpr25
	s_and_saveexec_b32 s0, vcc_lo
	s_cbranch_execz .LBB12_86
; %bb.77:
	s_cbranch_execnz .LBB12_102
; %bb.78:
	ds_load_b64 v[6:7], v0
	s_waitcnt lgkmcnt(1)
	v_ashrrev_i32_e32 v36, 31, v35
	v_or_b32_e32 v24, 0x100, v48
	s_waitcnt vmcnt(0)
	s_delay_alu instid0(VALU_DEP_2) | instskip(SKIP_1) | instid1(VALU_DEP_1)
	v_lshlrev_b64 v[8:9], 3, v[35:36]
	s_waitcnt lgkmcnt(0)
	v_add_co_u32 v6, vcc_lo, v6, v8
	s_delay_alu instid0(VALU_DEP_2)
	v_add_co_ci_u32_e32 v7, vcc_lo, v7, v9, vcc_lo
	v_and_b32_e32 v8, 0xffff, v39
	flat_load_b64 v[6:7], v[6:7]
	s_waitcnt vmcnt(0) lgkmcnt(0)
	v_mad_u64_u32 v[18:19], null, 0xa8, v8, v[6:7]
	flat_load_b128 v[6:9], v[18:19] offset:96
	s_waitcnt vmcnt(0) lgkmcnt(0)
	v_cmp_eq_u64_e32 vcc_lo, 0, v[6:7]
	v_cndmask_b32_e32 v48, v24, v48, vcc_lo
	s_delay_alu instid0(VALU_DEP_1) | instskip(NEXT) | instid1(VALU_DEP_1)
	v_and_b32_e32 v24, 16, v48
	v_cmp_ne_u32_e32 vcc_lo, 0, v24
                                        ; implicit-def: $vgpr24_vgpr25
	s_and_saveexec_b32 s1, vcc_lo
; %bb.79:
	s_clause 0x2
	flat_load_b64 v[24:25], v[18:19] offset:120
	flat_load_b64 v[20:21], v[18:19] offset:48
	;; [unrolled: 1-line block ×3, first 2 shown]
; %bb.80:
	s_or_b32 exec_lo, exec_lo, s1
	v_and_b32_e32 v35, 8, v48
	s_mov_b32 s1, exec_lo
	s_delay_alu instid0(VALU_DEP_1)
	v_cmpx_ne_u32_e32 0, v35
	s_cbranch_execz .LBB12_85
; %bb.81:
	s_waitcnt vmcnt(1) lgkmcnt(1)
	v_and_b32_e32 v20, 0x800, v48
	s_mov_b32 s2, exec_lo
	s_delay_alu instid0(VALU_DEP_1)
	v_cmpx_eq_u32_e32 0, v20
	s_cbranch_execz .LBB12_84
; %bb.82:
	s_cbranch_execnz .LBB12_1165
; %bb.83:
	ds_store_b64 v0, v[18:19]
.LBB12_84:
	s_or_b32 exec_lo, exec_lo, s2
	flat_load_b64 v[20:21], v[18:19] offset:56
	s_waitcnt vmcnt(0) lgkmcnt(0)
	flat_load_b64 v[28:29], v[20:21] glc
	s_clause 0x1
	flat_load_b32 v49, v[18:19] offset:72
	flat_load_b64 v[22:23], v[18:19] offset:16
.LBB12_85:
	s_or_b32 exec_lo, exec_lo, s1
.LBB12_86:
	s_delay_alu instid0(SALU_CYCLE_1) | instskip(SKIP_1) | instid1(VALU_DEP_1)
	s_or_b32 exec_lo, exec_lo, s0
	v_cmp_eq_u32_e64 s0, 0, v0
	s_and_saveexec_b32 s1, s0
	s_cbranch_execz .LBB12_89
; %bb.87:
	s_waitcnt lgkmcnt(0)
	flat_load_b64 v[35:36], v[2:3] offset:32
	s_waitcnt vmcnt(3)
	v_dual_mov_b32 v50, v12 :: v_dual_mov_b32 v51, v13
	v_dual_mov_b32 v52, v10 :: v_dual_mov_b32 v53, v11
	ds_store_2addr_b64 v0, v[50:51], v[52:53] offset1:1
	s_cbranch_execnz .LBB12_104
; %bb.88:
	s_waitcnt vmcnt(0) lgkmcnt(1)
	ds_store_b64 v0, v[35:36]
	ds_store_b64 v0, v[26:27]
.LBB12_89:
	s_or_b32 exec_lo, exec_lo, s1
	s_waitcnt vmcnt(1)
	v_mov_b32_e32 v26, 0
	s_waitcnt vmcnt(0)
	v_dual_mov_b32 v27, 0 :: v_dual_and_b32 v50, 0xffff, v38
	s_mov_b32 s22, exec_lo
	v_cmpx_ne_u64_e32 0, v[4:5]
	s_cbranch_execz .LBB12_1182
; %bb.90:
	flat_load_b32 v26, v[2:3] offset:4
	v_mov_b32_e32 v2, 0
	v_cmp_ne_u32_e64 s1, v32, v37
	v_cmp_ne_u32_e64 s2, v33, v37
	s_mov_b32 s23, 0
	s_cbranch_execnz .LBB12_1159
; %bb.91:
	v_cvt_f64_u32_e32 v[32:33], 0
	v_lshlrev_b32_e32 v3, 9, v34
	v_ashrrev_i32_e32 v27, 31, v0
	v_lshrrev_b32_e32 v54, 5, v30
	v_and_b32_e32 v70, 0xffffffe0, v30
	s_waitcnt vmcnt(0) lgkmcnt(0)
	v_and_b32_e32 v26, 1, v26
	v_and_b32_e32 v3, 0x3ffffe00, v3
	v_lshrrev_b32_e32 v27, 27, v27
	v_lshlrev_b32_e32 v64, 9, v54
	v_subrev_nc_u32_e32 v81, 32, v70
	s_ashr_i32 s4, s3, 31
	v_cvt_f64_u32_e32 v[34:35], v3
	v_add_nc_u32_e32 v27, v0, v27
	s_lshr_b32 s4, s4, 24
	v_ashrrev_i32_e32 v84, 31, v81
	v_cmp_ne_u64_e64 s15, v[12:13], v[10:11]
	s_add_i32 s3, s3, s4
	v_ashrrev_i32_e32 v51, 5, v27
	v_cmp_eq_u32_e32 vcc_lo, 32, v30
	v_cmp_eq_u64_e64 s12, 0, v[24:25]
	v_cmp_ne_u64_e64 s13, 0, v[24:25]
	s_ashr_i32 s24, s3, 8
	v_ashrrev_i32_e32 v52, 31, v49
	v_cmp_ne_u32_e64 s3, 32, v30
	v_cmp_ne_u32_e64 s4, v30, v50
	s_xor_b32 s14, s14, -1
	s_xor_b32 s27, vcc_lo, -1
	s_and_b32 s26, s14, s15
	v_mov_b32_e32 v99, 1
	v_ldexp_f64 v[32:33], v[32:33], 32
	s_delay_alu instid0(VALU_DEP_1) | instskip(SKIP_2) | instid1(VALU_DEP_2)
	v_add_f64 v[32:33], v[32:33], v[34:35]
	v_and_b32_e32 v34, 0xffffffe0, v27
	v_and_b32_e32 v27, 31, v31
	v_sub_nc_u32_e32 v53, v0, v34
	v_lshlrev_b32_e32 v34, 11, v51
	s_delay_alu instid0(VALU_DEP_3) | instskip(SKIP_1) | instid1(VALU_DEP_4)
	v_cmp_eq_u32_e64 s5, 0, v27
	v_lshl_add_u32 v27, v54, 11, 0xfffff800
	v_cmp_lt_i32_e64 s6, v53, v1
	s_delay_alu instid0(VALU_DEP_4) | instskip(SKIP_1) | instid1(VALU_DEP_4)
	v_lshl_add_u32 v55, v53, 4, v34
	v_cmp_le_i32_e64 s7, v53, v1
	v_ashrrev_i32_e32 v1, 31, v27
	v_add_co_u32 v67, s10, 0x800, v27
	s_delay_alu instid0(VALU_DEP_4) | instskip(SKIP_1) | instid1(VALU_DEP_4)
	v_dual_mov_b32 v34, 0 :: v_dual_add_nc_u32 v85, v55, v34
	v_dual_mov_b32 v35, 0 :: v_dual_add_nc_u32 v66, 0xfffffe00, v64
	v_add_co_ci_u32_e64 v68, s10, 0, v1, s10
	v_lshl_add_u32 v1, v54, 10, 0xfffffc00
	v_ashrrev_i32_e32 v65, 31, v55
	s_delay_alu instid0(VALU_DEP_4) | instskip(SKIP_1) | instid1(VALU_DEP_4)
	v_ashrrev_i32_e32 v69, 31, v66
	v_add_co_u32 v71, s10, 0x200, v66
	v_ashrrev_i32_e32 v27, 31, v1
	v_ashrrev_i32_e32 v96, 31, v85
	s_delay_alu instid0(VALU_DEP_4)
	v_add_co_ci_u32_e64 v80, s10, 0, v69, s10
	v_add_co_u32 v82, s10, 0x400, v1
	v_lshl_add_u32 v1, v54, 12, 0xfffff000
	v_add_co_ci_u32_e64 v83, s10, 0, v27, s10
	v_add_co_u32 v86, s10, v81, 32
	v_max_f64 v[32:33], v[32:33], v[32:33]
	s_delay_alu instid0(VALU_DEP_4) | instskip(SKIP_2) | instid1(VALU_DEP_3)
	v_ashrrev_i32_e32 v27, 31, v1
	v_add_co_u32 v97, s11, 0x1000, v1
	v_add_co_ci_u32_e64 v87, s10, 0, v84, s10
	v_add_co_ci_u32_e64 v98, s11, 0, v27, s11
	v_cmp_eq_u32_e64 s11, 1, v26
	v_dual_mov_b32 v26, v34 :: v_dual_mov_b32 v27, v35
	v_cmp_gt_i32_e64 s10, 1, v53
	s_delay_alu instid0(VALU_DEP_3)
	s_xor_b32 s25, s11, -1
	s_branch .LBB12_107
.LBB12_92:
	s_trap 2
	s_sendmsg_rtn_b32 s0, sendmsg(MSG_RTN_GET_DOORBELL)
	s_mov_b32 ttmp2, m0
	s_waitcnt lgkmcnt(0)
	s_and_b32 s0, s0, 0x3ff
	s_delay_alu instid0(SALU_CYCLE_1) | instskip(NEXT) | instid1(SALU_CYCLE_1)
	s_bitset1_b32 s0, 10
	s_mov_b32 m0, s0
	s_sendmsg sendmsg(MSG_INTERRUPT)
	s_mov_b32 m0, ttmp2
.LBB12_93:                              ; =>This Inner Loop Header: Depth=1
	s_sethalt 5
	s_branch .LBB12_93
.LBB12_94:
	s_trap 2
	s_sendmsg_rtn_b32 s0, sendmsg(MSG_RTN_GET_DOORBELL)
	s_mov_b32 ttmp2, m0
	s_waitcnt lgkmcnt(0)
	s_and_b32 s0, s0, 0x3ff
	s_delay_alu instid0(SALU_CYCLE_1) | instskip(NEXT) | instid1(SALU_CYCLE_1)
	s_bitset1_b32 s0, 10
	s_mov_b32 m0, s0
	s_sendmsg sendmsg(MSG_INTERRUPT)
	s_mov_b32 m0, ttmp2
.LBB12_95:                              ; =>This Inner Loop Header: Depth=1
	s_sethalt 5
	s_branch .LBB12_95
.LBB12_96:
	s_trap 2
	s_sendmsg_rtn_b32 s0, sendmsg(MSG_RTN_GET_DOORBELL)
	s_mov_b32 ttmp2, m0
	s_waitcnt lgkmcnt(0)
	s_and_b32 s0, s0, 0x3ff
	s_delay_alu instid0(SALU_CYCLE_1) | instskip(NEXT) | instid1(SALU_CYCLE_1)
	s_bitset1_b32 s0, 10
	s_mov_b32 m0, s0
	s_sendmsg sendmsg(MSG_INTERRUPT)
	s_mov_b32 m0, ttmp2
.LBB12_97:                              ; =>This Inner Loop Header: Depth=1
	s_sethalt 5
	s_branch .LBB12_97
.LBB12_98:
	s_trap 2
	s_sendmsg_rtn_b32 s0, sendmsg(MSG_RTN_GET_DOORBELL)
	s_mov_b32 ttmp2, m0
	s_waitcnt lgkmcnt(0)
	s_and_b32 s0, s0, 0x3ff
	s_delay_alu instid0(SALU_CYCLE_1) | instskip(NEXT) | instid1(SALU_CYCLE_1)
	s_bitset1_b32 s0, 10
	s_mov_b32 m0, s0
	s_sendmsg sendmsg(MSG_INTERRUPT)
	s_mov_b32 m0, ttmp2
.LBB12_99:                              ; =>This Inner Loop Header: Depth=1
	s_sethalt 5
	s_branch .LBB12_99
.LBB12_100:
	s_trap 2
	s_sendmsg_rtn_b32 s0, sendmsg(MSG_RTN_GET_DOORBELL)
	s_mov_b32 ttmp2, m0
	s_waitcnt lgkmcnt(0)
	s_and_b32 s0, s0, 0x3ff
	s_delay_alu instid0(SALU_CYCLE_1) | instskip(NEXT) | instid1(SALU_CYCLE_1)
	s_bitset1_b32 s0, 10
	s_mov_b32 m0, s0
	s_sendmsg sendmsg(MSG_INTERRUPT)
	s_mov_b32 m0, ttmp2
.LBB12_101:                             ; =>This Inner Loop Header: Depth=1
	s_sethalt 5
	s_branch .LBB12_101
.LBB12_102:
	s_trap 2
	s_sendmsg_rtn_b32 s0, sendmsg(MSG_RTN_GET_DOORBELL)
	s_mov_b32 ttmp2, m0
	s_waitcnt lgkmcnt(0)
	s_and_b32 s0, s0, 0x3ff
	s_delay_alu instid0(SALU_CYCLE_1) | instskip(NEXT) | instid1(SALU_CYCLE_1)
	s_bitset1_b32 s0, 10
	s_mov_b32 m0, s0
	s_sendmsg sendmsg(MSG_INTERRUPT)
	s_mov_b32 m0, ttmp2
.LBB12_103:                             ; =>This Inner Loop Header: Depth=1
	s_sethalt 5
	s_branch .LBB12_103
.LBB12_104:
	s_trap 2
	s_sendmsg_rtn_b32 s0, sendmsg(MSG_RTN_GET_DOORBELL)
	s_mov_b32 ttmp2, m0
	s_waitcnt lgkmcnt(0)
	s_and_b32 s0, s0, 0x3ff
	s_delay_alu instid0(SALU_CYCLE_1) | instskip(NEXT) | instid1(SALU_CYCLE_1)
	s_bitset1_b32 s0, 10
	s_mov_b32 m0, s0
	s_sendmsg sendmsg(MSG_INTERRUPT)
	s_mov_b32 m0, ttmp2
.LBB12_105:                             ; =>This Inner Loop Header: Depth=1
	s_sethalt 5
	s_branch .LBB12_105
.LBB12_106:                             ;   in Loop: Header=BB12_107 Depth=1
	s_or_b32 exec_lo, exec_lo, s14
	v_add_co_u32 v34, vcc_lo, v34, v3
	v_add_co_ci_u32_e32 v35, vcc_lo, 0, v35, vcc_lo
	s_delay_alu instid0(VALU_DEP_1) | instskip(SKIP_1) | instid1(SALU_CYCLE_1)
	v_cmp_ge_u64_e32 vcc_lo, v[34:35], v[4:5]
	s_or_b32 s23, vcc_lo, s23
	s_and_not1_b32 exec_lo, exec_lo, s23
	s_cbranch_execz .LBB12_1181
.LBB12_107:                             ; =>This Loop Header: Depth=1
                                        ;     Child Loop BB12_119 Depth 2
                                        ;     Child Loop BB12_151 Depth 2
	;; [unrolled: 1-line block ×5, first 2 shown]
                                        ;       Child Loop BB12_206 Depth 3
                                        ;     Child Loop BB12_217 Depth 2
                                        ;     Child Loop BB12_223 Depth 2
                                        ;       Child Loop BB12_224 Depth 3
                                        ;     Child Loop BB12_237 Depth 2
                                        ;     Child Loop BB12_243 Depth 2
	;; [unrolled: 1-line block ×26, first 2 shown]
                                        ;       Child Loop BB12_728 Depth 3
                                        ;     Child Loop BB12_739 Depth 2
                                        ;     Child Loop BB12_745 Depth 2
                                        ;       Child Loop BB12_746 Depth 3
                                        ;     Child Loop BB12_759 Depth 2
                                        ;     Child Loop BB12_765 Depth 2
	;; [unrolled: 1-line block ×21, first 2 shown]
	v_sub_co_u32 v1, vcc_lo, v4, v34
	v_sub_co_ci_u32_e32 v10, vcc_lo, v5, v35, vcc_lo
	s_mov_b32 s28, 0
	s_delay_alu instid0(VALU_DEP_2) | instskip(NEXT) | instid1(VALU_DEP_2)
	v_cvt_f64_u32_e32 v[12:13], v1
	v_cvt_f64_u32_e32 v[10:11], v10
	s_delay_alu instid0(VALU_DEP_1) | instskip(NEXT) | instid1(VALU_DEP_1)
	v_ldexp_f64 v[10:11], v[10:11], 32
	v_add_f64 v[10:11], v[10:11], v[12:13]
	s_delay_alu instid0(VALU_DEP_1) | instskip(NEXT) | instid1(VALU_DEP_1)
	v_min_f64 v[10:11], v[32:33], v[10:11]
	v_cvt_i32_f64_e32 v11, v[10:11]
	s_delay_alu instid0(VALU_DEP_1) | instskip(SKIP_2) | instid1(VALU_DEP_3)
	v_max_i32_e32 v39, 0, v11
	v_cmp_gt_i32_e64 s14, 1, v11
	v_cmp_lt_i32_e64 s15, 0, v11
	v_add_nc_u32_e32 v1, 15, v39
	s_delay_alu instid0(VALU_DEP_1) | instskip(NEXT) | instid1(VALU_DEP_1)
	v_ashrrev_i32_e32 v10, 31, v1
	v_lshrrev_b32_e32 v10, 28, v10
	s_delay_alu instid0(VALU_DEP_1) | instskip(NEXT) | instid1(VALU_DEP_1)
	v_add_nc_u32_e32 v1, v1, v10
	v_and_b32_e32 v12, -16, v1
	v_add_co_u32 v1, vcc_lo, v34, v14
	v_add_co_ci_u32_e32 v10, vcc_lo, v35, v15, vcc_lo
	s_delay_alu instid0(VALU_DEP_3) | instskip(SKIP_1) | instid1(SALU_CYCLE_1)
	v_max_i32_e32 v36, s24, v12
	s_and_saveexec_b32 s16, s1
	s_xor_b32 s29, exec_lo, s16
	s_cbranch_execz .LBB12_634
; %bb.108:                              ;   in Loop: Header=BB12_107 Depth=1
	s_mov_b32 s18, 0
	s_and_saveexec_b32 s16, s2
	s_delay_alu instid0(SALU_CYCLE_1)
	s_xor_b32 s28, exec_lo, s16
	s_cbranch_execz .LBB12_398
; %bb.109:                              ;   in Loop: Header=BB12_107 Depth=1
	v_mov_b32_e32 v12, 0
	s_and_saveexec_b32 vcc_hi, s15
	s_cbranch_execz .LBB12_315
; %bb.110:                              ;   in Loop: Header=BB12_107 Depth=1
	s_and_saveexec_b32 s17, s0
	s_cbranch_execz .LBB12_113
; %bb.111:                              ;   in Loop: Header=BB12_107 Depth=1
	s_cbranch_execnz .LBB12_1167
; %bb.112:                              ;   in Loop: Header=BB12_107 Depth=1
	ds_load_b128 v[100:103], v0
	s_waitcnt lgkmcnt(0)
	v_add_co_u32 v13, vcc_lo, v102, v1
	v_add_co_ci_u32_e32 v37, vcc_lo, v103, v10, vcc_lo
	v_cmp_ne_u64_e32 vcc_lo, 0, v[102:103]
	v_add_co_u32 v11, s16, v100, v1
	s_delay_alu instid0(VALU_DEP_1) | instskip(NEXT) | instid1(VALU_DEP_4)
	v_add_co_ci_u32_e64 v12, s16, v101, v10, s16
	v_cndmask_b32_e32 v38, 0, v37, vcc_lo
	v_cndmask_b32_e32 v37, 0, v13, vcc_lo
	ds_store_b64 v0, v[11:12]
	ds_store_b64 v0, v[37:38]
.LBB12_113:                             ;   in Loop: Header=BB12_107 Depth=1
	s_or_b32 exec_lo, exec_lo, s17
	v_and_b32_e32 v1, 12, v48
	s_mov_b32 s17, -1
	s_mov_b32 s16, exec_lo
	s_delay_alu instid0(VALU_DEP_1)
	v_cmpx_ne_u32_e32 0, v1
	s_cbranch_execz .LBB12_127
; %bb.114:                              ;   in Loop: Header=BB12_107 Depth=1
	v_and_b32_e32 v1, 8, v48
	s_delay_alu instid0(VALU_DEP_1) | instskip(SKIP_3) | instid1(VALU_DEP_1)
	v_add_co_u32 v12, vcc_lo, v28, v1
	v_add_co_ci_u32_e32 v13, vcc_lo, 0, v29, vcc_lo
	v_add_co_u32 v10, vcc_lo, v8, 1
	v_add_co_ci_u32_e32 v11, vcc_lo, 0, v9, vcc_lo
	v_cmp_lt_u64_e32 vcc_lo, v[12:13], v[10:11]
	v_mov_b32_e32 v12, 1
	s_and_saveexec_b32 s17, vcc_lo
	s_cbranch_execz .LBB12_126
; %bb.115:                              ;   in Loop: Header=BB12_107 Depth=1
	v_mov_b32_e32 v12, 0
                                        ; implicit-def: $sgpr19
	s_branch .LBB12_119
.LBB12_116:                             ;   in Loop: Header=BB12_119 Depth=2
	s_or_b32 exec_lo, exec_lo, s35
	v_mov_b32_e32 v13, 0
	s_or_not1_b32 s34, s34, exec_lo
.LBB12_117:                             ;   in Loop: Header=BB12_119 Depth=2
	s_or_b32 exec_lo, exec_lo, s31
	s_delay_alu instid0(VALU_DEP_1) | instskip(SKIP_2) | instid1(SALU_CYCLE_1)
	v_mov_b32_e32 v12, v13
	s_and_not1_b32 s19, s19, exec_lo
	s_and_b32 vcc_lo, s34, exec_lo
	s_or_b32 s19, s19, vcc_lo
.LBB12_118:                             ;   in Loop: Header=BB12_119 Depth=2
	s_or_b32 exec_lo, exec_lo, s30
	s_waitcnt vmcnt(0) lgkmcnt(0)
	v_add_co_u32 v37, vcc_lo, v28, v1
	v_add_co_ci_u32_e32 v38, vcc_lo, 0, v29, vcc_lo
	s_xor_b32 s30, s19, -1
	s_delay_alu instid0(VALU_DEP_1) | instskip(SKIP_1) | instid1(SALU_CYCLE_1)
	v_cmp_ge_u64_e32 vcc_lo, v[37:38], v[10:11]
	s_or_b32 vcc_lo, s30, vcc_lo
	s_and_b32 vcc_lo, exec_lo, vcc_lo
	s_delay_alu instid0(SALU_CYCLE_1) | instskip(NEXT) | instid1(SALU_CYCLE_1)
	s_or_b32 s18, vcc_lo, s18
	s_and_not1_b32 exec_lo, exec_lo, s18
	s_cbranch_execz .LBB12_125
.LBB12_119:                             ;   Parent Loop BB12_107 Depth=1
                                        ; =>  This Inner Loop Header: Depth=2
	s_sleep 1
	flat_load_b64 v[28:29], v[20:21] glc
	v_and_b32_e32 v13, 64, v48
	s_and_not1_b32 s19, s19, exec_lo
	s_mov_b32 s30, exec_lo
	s_delay_alu instid0(VALU_DEP_1)
	v_cmpx_eq_u32_e32 0, v13
	s_cbranch_execz .LBB12_118
; %bb.120:                              ;   in Loop: Header=BB12_119 Depth=2
	v_add_nc_u32_e32 v13, 1, v12
	s_mov_b32 s34, -1
	s_mov_b32 s31, exec_lo
	v_cmpx_lt_i32_e32 0x270e, v12
	s_cbranch_execz .LBB12_117
; %bb.121:                              ;   in Loop: Header=BB12_119 Depth=2
	s_cbranch_execnz .LBB12_1221
; %bb.122:                              ;   in Loop: Header=BB12_119 Depth=2
	ds_load_b64 v[12:13], v0
	s_mov_b32 s35, exec_lo
	s_waitcnt vmcnt(0) lgkmcnt(0)
	s_waitcnt_vscnt null, 0x0
	flat_load_b32 v12, v[12:13] glc
	s_waitcnt vmcnt(0) lgkmcnt(0)
	buffer_gl1_inv
	buffer_gl0_inv
	v_cmpx_ne_u32_e32 0, v12
	s_cbranch_execz .LBB12_116
; %bb.123:                              ;   in Loop: Header=BB12_119 Depth=2
	ds_store_b32 v0, v12
	s_cbranch_execnz .LBB12_1266
; %bb.124:                              ;   in Loop: Header=BB12_119 Depth=2
	v_or_b32_e32 v48, 64, v48
	s_xor_b32 s34, exec_lo, -1
	s_branch .LBB12_116
.LBB12_125:                             ;   in Loop: Header=BB12_107 Depth=1
	s_or_b32 exec_lo, exec_lo, s18
	v_and_b32_e32 v12, 12, v48
.LBB12_126:                             ;   in Loop: Header=BB12_107 Depth=1
	s_or_b32 exec_lo, exec_lo, s17
	s_delay_alu instid0(VALU_DEP_1)
	v_cmp_eq_u32_e32 vcc_lo, 0, v12
	;;#ASMSTART
	s_wakeup
	;;#ASMEND
	s_or_not1_b32 s17, vcc_lo, exec_lo
.LBB12_127:                             ;   in Loop: Header=BB12_107 Depth=1
	s_or_b32 exec_lo, exec_lo, s16
	v_min_i32_e32 v36, v36, v39
	s_xor_b32 s16, s17, -1
	s_delay_alu instid0(SALU_CYCLE_1)
	s_and_saveexec_b32 s17, s16
	s_cbranch_execz .LBB12_142
; %bb.128:                              ;   in Loop: Header=BB12_107 Depth=1
	v_and_b32_e32 v1, 0x108, v48
	s_mov_b32 s16, exec_lo
	s_delay_alu instid0(VALU_DEP_1)
	v_cmpx_ne_u32_e32 0x108, v1
	s_xor_b32 s16, exec_lo, s16
                                        ; implicit-def: $vgpr10_vgpr11
; %bb.129:                              ;   in Loop: Header=BB12_107 Depth=1
	v_and_b32_e32 v10, 7, v8
; %bb.130:                              ;   in Loop: Header=BB12_107 Depth=1
	s_and_not1_saveexec_b32 s16, s16
	s_cbranch_execz .LBB12_132
; %bb.131:                              ;   in Loop: Header=BB12_107 Depth=1
	v_and_b32_e32 v10, 7, v8
	v_ashrrev_i32_e32 v37, 31, v36
	s_delay_alu instid0(VALU_DEP_2)
	v_mad_u64_u32 v[11:12], null, v10, 24, v[6:7]
	flat_store_b64 v[11:12], v[36:37] offset:8
.LBB12_132:                             ;   in Loop: Header=BB12_107 Depth=1
	s_or_b32 exec_lo, exec_lo, s16
	v_and_b32_e32 v1, 0x100, v48
	s_mov_b32 s16, -1
	s_mov_b32 s18, exec_lo
                                        ; implicit-def: $vgpr11_vgpr12
	s_delay_alu instid0(VALU_DEP_1)
	v_cmpx_ne_u32_e32 0, v1
	s_cbranch_execnz .LBB12_135
; %bb.133:                              ;   in Loop: Header=BB12_107 Depth=1
	s_or_b32 exec_lo, exec_lo, s18
	s_and_saveexec_b32 s18, s16
	s_cbranch_execnz .LBB12_138
.LBB12_134:                             ;   in Loop: Header=BB12_107 Depth=1
	s_or_b32 exec_lo, exec_lo, s18
	s_cbranch_execnz .LBB12_1179
	s_branch .LBB12_139
.LBB12_135:                             ;   in Loop: Header=BB12_107 Depth=1
	v_mad_u64_u32 v[37:38], null, v10, 24, v[6:7]
	s_mov_b32 s19, exec_lo
	s_delay_alu instid0(VALU_DEP_1) | instskip(NEXT) | instid1(VALU_DEP_1)
	v_mov_b32_e32 v1, v38
	v_mad_u64_u32 v[11:12], null, v2, 24, v[1:2]
	s_delay_alu instid0(VALU_DEP_1)
	v_mov_b32_e32 v38, v11
                                        ; implicit-def: $vgpr11_vgpr12
	flat_load_b32 v1, v[37:38]
	s_waitcnt vmcnt(0) lgkmcnt(0)
	v_cmp_ne_u32_e32 vcc_lo, 1, v1
	v_cmpx_eq_u32_e32 1, v1
	s_cbranch_execz .LBB12_137
; %bb.136:                              ;   in Loop: Header=BB12_107 Depth=1
	flat_load_b32 v11, v[37:38] offset:4 glc
	s_waitcnt vmcnt(0) lgkmcnt(0)
	v_ashrrev_i32_e32 v12, 31, v11
.LBB12_137:                             ;   in Loop: Header=BB12_107 Depth=1
	s_or_b32 exec_lo, exec_lo, s19
	s_delay_alu instid0(SALU_CYCLE_1)
	s_or_not1_b32 s16, vcc_lo, exec_lo
	s_or_b32 exec_lo, exec_lo, s18
	s_and_saveexec_b32 s18, s16
	s_cbranch_execz .LBB12_134
.LBB12_138:                             ;   in Loop: Header=BB12_107 Depth=1
	v_mul_lo_u32 v1, v2, v49
	v_mul_lo_u32 v13, v10, v52
	v_mad_u64_u32 v[11:12], null, v10, v49, 0
	s_delay_alu instid0(VALU_DEP_1)
	v_add3_u32 v12, v12, v13, v1
	s_or_b32 exec_lo, exec_lo, s18
	s_cbranch_execnz .LBB12_1179
.LBB12_139:                             ;   in Loop: Header=BB12_107 Depth=1
	s_delay_alu instid0(VALU_DEP_2)
	v_add_co_u32 v10, vcc_lo, v22, v11
	v_and_b32_e32 v1, 0x2000, v48
	v_add_co_ci_u32_e32 v11, vcc_lo, v23, v12, vcc_lo
	s_mov_b32 s16, exec_lo
	ds_store_b64 v0, v[10:11]
	v_cmpx_ne_u32_e32 0, v1
	s_cbranch_execz .LBB12_141
; %bb.140:                              ;   in Loop: Header=BB12_107 Depth=1
	ds_load_b64 v[10:11], v0 offset:584
	s_waitcnt lgkmcnt(0)
	v_add_co_u32 v10, vcc_lo, v10, 1
	v_add_co_ci_u32_e32 v11, vcc_lo, 0, v11, vcc_lo
	ds_store_b64 v0, v[10:11] offset:584
.LBB12_141:                             ;   in Loop: Header=BB12_107 Depth=1
	s_or_b32 exec_lo, exec_lo, s16
	v_add_co_u32 v8, vcc_lo, v8, 1
	v_add_co_ci_u32_e32 v9, vcc_lo, 0, v9, vcc_lo
.LBB12_142:                             ;   in Loop: Header=BB12_107 Depth=1
	s_or_b32 exec_lo, exec_lo, s17
	s_and_saveexec_b32 s16, s3
	s_cbranch_execz .LBB12_164
; %bb.143:                              ;   in Loop: Header=BB12_107 Depth=1
	s_and_saveexec_b32 s17, s4
	s_delay_alu instid0(SALU_CYCLE_1)
	s_xor_b32 s17, exec_lo, s17
	s_cbranch_execz .LBB12_161
; %bb.144:                              ;   in Loop: Header=BB12_107 Depth=1
	s_and_saveexec_b32 s18, s5
	s_cbranch_execz .LBB12_160
; %bb.145:                              ;   in Loop: Header=BB12_107 Depth=1
	s_mov_b32 s30, exec_lo
	s_mov_b32 s19, exec_lo
	v_mbcnt_lo_u32_b32 v1, s30, 0
	s_waitcnt lgkmcnt(0)
	s_waitcnt_vscnt null, 0x0
	buffer_gl1_inv
	buffer_gl0_inv
	v_cmpx_eq_u32_e32 0, v1
	s_cbranch_execz .LBB12_147
; %bb.146:                              ;   in Loop: Header=BB12_107 Depth=1
	s_bcnt1_i32_b32 vcc_lo, s30
	s_delay_alu instid0(SALU_CYCLE_1)
	v_mov_b32_e32 v1, vcc_lo
	ds_add_u64 v0, v[1:2]
	s_cbranch_execnz .LBB12_1300
.LBB12_147:                             ;   in Loop: Header=BB12_107 Depth=1
	s_or_b32 exec_lo, exec_lo, s19
	s_cbranch_execnz .LBB12_1280
; %bb.148:                              ;   in Loop: Header=BB12_107 Depth=1
	ds_load_b64 v[10:11], v0
	v_add_co_u32 v26, vcc_lo, v26, v54
	v_add_co_ci_u32_e32 v27, vcc_lo, 0, v27, vcc_lo
	s_mov_b32 s19, exec_lo
	s_waitcnt lgkmcnt(0)
	s_delay_alu instid0(VALU_DEP_1)
	v_cmpx_lt_u64_e64 v[10:11], v[26:27]
	s_cbranch_execz .LBB12_159
; %bb.149:                              ;   in Loop: Header=BB12_107 Depth=1
	s_mov_b32 s30, 0
	s_mov_b32 s35, 0
                                        ; implicit-def: $sgpr31
                                        ; implicit-def: $sgpr34
	s_branch .LBB12_151
.LBB12_150:                             ;   in Loop: Header=BB12_151 Depth=2
	s_or_b32 exec_lo, exec_lo, s37
	s_delay_alu instid0(SALU_CYCLE_1) | instskip(NEXT) | instid1(SALU_CYCLE_1)
	s_and_b32 vcc_lo, exec_lo, vcc_lo
	s_or_b32 s30, vcc_lo, s30
	s_and_not1_b32 vcc_lo, s31, exec_lo
	s_and_b32 s31, s34, exec_lo
	s_delay_alu instid0(SALU_CYCLE_1)
	s_or_b32 s31, vcc_lo, s31
	s_and_not1_b32 exec_lo, exec_lo, s30
	s_cbranch_execz .LBB12_157
.LBB12_151:                             ;   Parent Loop BB12_107 Depth=1
                                        ; =>  This Inner Loop Header: Depth=2
	s_add_i32 s35, s35, 1
                                        ; implicit-def: $sgpr37
	s_delay_alu instid0(SALU_CYCLE_1) | instskip(SKIP_1) | instid1(SALU_CYCLE_1)
	s_cmpk_lg_i32 s35, 0x2710
	s_cselect_b32 s36, -1, 0
	s_and_b32 vcc_lo, exec_lo, s36
	s_cbranch_vccz .LBB12_155
.LBB12_152:                             ;   in Loop: Header=BB12_151 Depth=2
	s_and_not1_b32 s34, s34, exec_lo
	s_and_b32 s37, s37, exec_lo
	s_mov_b32 vcc_lo, -1
	s_or_b32 s34, s34, s37
	s_and_saveexec_b32 s37, s36
	s_cbranch_execz .LBB12_150
; %bb.153:                              ;   in Loop: Header=BB12_151 Depth=2
	s_sleep 1
	s_cbranch_execnz .LBB12_1352
; %bb.154:                              ;   in Loop: Header=BB12_151 Depth=2
	ds_load_b64 v[10:11], v0
	s_and_not1_b32 s34, s34, exec_lo
	s_waitcnt lgkmcnt(0)
	v_cmp_ge_u64_e32 vcc_lo, v[10:11], v[26:27]
	s_or_not1_b32 vcc_lo, vcc_lo, exec_lo
	s_branch .LBB12_150
.LBB12_155:                             ;   in Loop: Header=BB12_151 Depth=2
	s_cbranch_execnz .LBB12_1360
; %bb.156:                              ;   in Loop: Header=BB12_151 Depth=2
	ds_load_b64 v[10:11], v0
	s_and_not1_b32 s36, s36, exec_lo
	s_mov_b32 s35, 0
	s_mov_b32 s37, -1
	s_waitcnt lgkmcnt(0)
	flat_load_b32 v1, v[10:11] glc
	s_waitcnt vmcnt(0) lgkmcnt(0)
	buffer_gl1_inv
	buffer_gl0_inv
	v_cmp_eq_u32_e32 vcc_lo, 0, v1
	s_and_b32 vcc_lo, vcc_lo, exec_lo
	s_delay_alu instid0(SALU_CYCLE_1)
	s_or_b32 s36, s36, vcc_lo
	s_branch .LBB12_152
.LBB12_157:                             ;   in Loop: Header=BB12_107 Depth=1
	s_or_b32 exec_lo, exec_lo, s30
	s_and_saveexec_b32 vcc_lo, s31
	s_delay_alu instid0(SALU_CYCLE_1)
	s_xor_b32 vcc_lo, exec_lo, vcc_lo
	s_cbranch_execz .LBB12_159
; %bb.158:                              ;   in Loop: Header=BB12_107 Depth=1
	ds_store_b32 v0, v99
	s_cbranch_execnz .LBB12_1543
.LBB12_159:                             ;   in Loop: Header=BB12_107 Depth=1
	s_or_b32 exec_lo, exec_lo, s19
	;;#ASMSTART
	s_wakeup
	;;#ASMEND
.LBB12_160:                             ;   in Loop: Header=BB12_107 Depth=1
	s_or_b32 exec_lo, exec_lo, s18
.LBB12_161:                             ;   in Loop: Header=BB12_107 Depth=1
	s_and_not1_saveexec_b32 s17, s17
	s_cbranch_execz .LBB12_163
; %bb.162:                              ;   in Loop: Header=BB12_107 Depth=1
	s_waitcnt lgkmcnt(0)
	s_waitcnt_vscnt null, 0x0
	buffer_gl1_inv
	buffer_gl0_inv
	s_barrier
.LBB12_163:                             ;   in Loop: Header=BB12_107 Depth=1
	s_or_b32 exec_lo, exec_lo, s17
.LBB12_164:                             ;   in Loop: Header=BB12_107 Depth=1
	s_delay_alu instid0(SALU_CYCLE_1)
	s_or_b32 exec_lo, exec_lo, s16
	s_cbranch_execnz .LBB12_1169
; %bb.165:                              ;   in Loop: Header=BB12_107 Depth=1
	ds_load_b32 v10, v0
	v_and_b32_e32 v1, 0x4000, v48
	s_delay_alu instid0(VALU_DEP_1) | instskip(SKIP_1) | instid1(SALU_CYCLE_1)
	v_cmp_ne_u32_e32 vcc_lo, 0, v1
	s_and_b32 s17, s27, vcc_lo
	s_and_saveexec_b32 s16, s17
	s_cbranch_execz .LBB12_187
; %bb.166:                              ;   in Loop: Header=BB12_107 Depth=1
	s_and_saveexec_b32 s17, s4
	s_delay_alu instid0(SALU_CYCLE_1)
	s_xor_b32 s17, exec_lo, s17
	s_cbranch_execz .LBB12_184
; %bb.167:                              ;   in Loop: Header=BB12_107 Depth=1
	s_and_saveexec_b32 s18, s5
	s_cbranch_execz .LBB12_183
; %bb.168:                              ;   in Loop: Header=BB12_107 Depth=1
	s_mov_b32 s30, exec_lo
	s_mov_b32 s19, exec_lo
	v_mbcnt_lo_u32_b32 v1, s30, 0
	s_waitcnt lgkmcnt(0)
	s_waitcnt_vscnt null, 0x0
	buffer_gl1_inv
	buffer_gl0_inv
	v_cmpx_eq_u32_e32 0, v1
	s_cbranch_execz .LBB12_170
; %bb.169:                              ;   in Loop: Header=BB12_107 Depth=1
	s_bcnt1_i32_b32 vcc_lo, s30
	s_delay_alu instid0(SALU_CYCLE_1)
	v_mov_b32_e32 v1, vcc_lo
	ds_add_u64 v0, v[1:2]
	s_cbranch_execnz .LBB12_1342
.LBB12_170:                             ;   in Loop: Header=BB12_107 Depth=1
	s_or_b32 exec_lo, exec_lo, s19
	s_cbranch_execnz .LBB12_1322
; %bb.171:                              ;   in Loop: Header=BB12_107 Depth=1
	ds_load_b64 v[11:12], v0
	v_add_co_u32 v26, vcc_lo, v26, v54
	v_add_co_ci_u32_e32 v27, vcc_lo, 0, v27, vcc_lo
	s_mov_b32 s19, exec_lo
	s_waitcnt lgkmcnt(0)
	s_delay_alu instid0(VALU_DEP_1)
	v_cmpx_lt_u64_e64 v[11:12], v[26:27]
	s_cbranch_execz .LBB12_182
; %bb.172:                              ;   in Loop: Header=BB12_107 Depth=1
	s_mov_b32 s30, 0
	s_mov_b32 s35, 0
                                        ; implicit-def: $sgpr31
                                        ; implicit-def: $sgpr34
	s_branch .LBB12_174
.LBB12_173:                             ;   in Loop: Header=BB12_174 Depth=2
	s_or_b32 exec_lo, exec_lo, s37
	s_delay_alu instid0(SALU_CYCLE_1) | instskip(NEXT) | instid1(SALU_CYCLE_1)
	s_and_b32 vcc_lo, exec_lo, vcc_lo
	s_or_b32 s30, vcc_lo, s30
	s_and_not1_b32 vcc_lo, s31, exec_lo
	s_and_b32 s31, s34, exec_lo
	s_delay_alu instid0(SALU_CYCLE_1)
	s_or_b32 s31, vcc_lo, s31
	s_and_not1_b32 exec_lo, exec_lo, s30
	s_cbranch_execz .LBB12_180
.LBB12_174:                             ;   Parent Loop BB12_107 Depth=1
                                        ; =>  This Inner Loop Header: Depth=2
	s_add_i32 s35, s35, 1
                                        ; implicit-def: $sgpr37
	s_delay_alu instid0(SALU_CYCLE_1) | instskip(SKIP_1) | instid1(SALU_CYCLE_1)
	s_cmpk_lg_i32 s35, 0x2710
	s_cselect_b32 s36, -1, 0
	s_and_b32 vcc_lo, exec_lo, s36
	s_cbranch_vccz .LBB12_178
.LBB12_175:                             ;   in Loop: Header=BB12_174 Depth=2
	s_and_not1_b32 s34, s34, exec_lo
	s_and_b32 s37, s37, exec_lo
	s_mov_b32 vcc_lo, -1
	s_or_b32 s34, s34, s37
	s_and_saveexec_b32 s37, s36
	s_cbranch_execz .LBB12_173
; %bb.176:                              ;   in Loop: Header=BB12_174 Depth=2
	s_sleep 1
	s_cbranch_execnz .LBB12_1410
; %bb.177:                              ;   in Loop: Header=BB12_174 Depth=2
	ds_load_b64 v[11:12], v0
	s_and_not1_b32 s34, s34, exec_lo
	s_waitcnt lgkmcnt(0)
	v_cmp_ge_u64_e32 vcc_lo, v[11:12], v[26:27]
	s_or_not1_b32 vcc_lo, vcc_lo, exec_lo
	s_branch .LBB12_173
.LBB12_178:                             ;   in Loop: Header=BB12_174 Depth=2
	s_cbranch_execnz .LBB12_1441
; %bb.179:                              ;   in Loop: Header=BB12_174 Depth=2
	ds_load_b64 v[11:12], v0
	s_and_not1_b32 s36, s36, exec_lo
	s_mov_b32 s35, 0
	s_mov_b32 s37, -1
	s_waitcnt lgkmcnt(0)
	flat_load_b32 v1, v[11:12] glc
	s_waitcnt vmcnt(0) lgkmcnt(0)
	buffer_gl1_inv
	buffer_gl0_inv
	v_cmp_eq_u32_e32 vcc_lo, 0, v1
	s_and_b32 vcc_lo, vcc_lo, exec_lo
	s_delay_alu instid0(SALU_CYCLE_1)
	s_or_b32 s36, s36, vcc_lo
	s_branch .LBB12_175
.LBB12_180:                             ;   in Loop: Header=BB12_107 Depth=1
	s_or_b32 exec_lo, exec_lo, s30
	s_and_saveexec_b32 vcc_lo, s31
	s_delay_alu instid0(SALU_CYCLE_1)
	s_xor_b32 vcc_lo, exec_lo, vcc_lo
	s_cbranch_execz .LBB12_182
; %bb.181:                              ;   in Loop: Header=BB12_107 Depth=1
	ds_store_b32 v0, v99
	s_cbranch_execnz .LBB12_1563
.LBB12_182:                             ;   in Loop: Header=BB12_107 Depth=1
	s_or_b32 exec_lo, exec_lo, s19
	;;#ASMSTART
	s_wakeup
	;;#ASMEND
.LBB12_183:                             ;   in Loop: Header=BB12_107 Depth=1
	s_or_b32 exec_lo, exec_lo, s18
.LBB12_184:                             ;   in Loop: Header=BB12_107 Depth=1
	s_and_not1_saveexec_b32 s17, s17
	s_cbranch_execz .LBB12_186
; %bb.185:                              ;   in Loop: Header=BB12_107 Depth=1
	s_waitcnt lgkmcnt(0)
	s_waitcnt_vscnt null, 0x0
	buffer_gl1_inv
	buffer_gl0_inv
	s_barrier
.LBB12_186:                             ;   in Loop: Header=BB12_107 Depth=1
	s_or_b32 exec_lo, exec_lo, s17
.LBB12_187:                             ;   in Loop: Header=BB12_107 Depth=1
	s_delay_alu instid0(SALU_CYCLE_1)
	s_or_b32 exec_lo, exec_lo, s16
	s_cbranch_execnz .LBB12_1229
; %bb.188:                              ;   in Loop: Header=BB12_107 Depth=1
	ds_load_b64 v[11:12], v0
	s_waitcnt lgkmcnt(0)
	v_cmp_eq_u64_e32 vcc_lo, 0, v[11:12]
	s_or_b32 s16, vcc_lo, vcc_lo
	s_delay_alu instid0(SALU_CYCLE_1)
	s_and_b32 vcc_lo, exec_lo, s16
	s_mov_b32 s16, 0
	s_cbranch_vccnz .LBB12_262
; %bb.189:                              ;   in Loop: Header=BB12_107 Depth=1
	v_cmp_eq_u32_e32 vcc_lo, 0, v10
	s_cbranch_execnz .LBB12_1274
; %bb.190:                              ;   in Loop: Header=BB12_107 Depth=1
	ds_load_b64 v[10:11], v0
	v_cndmask_b32_e32 v1, 0, v36, vcc_lo
	s_waitcnt lgkmcnt(0)
	v_cmp_ne_u64_e64 s16, 0, v[10:11]
	s_delay_alu instid0(VALU_DEP_1)
	s_and_b32 vcc_lo, exec_lo, s16
	s_cbranch_vccz .LBB12_227
; %bb.191:                              ;   in Loop: Header=BB12_107 Depth=1
	s_mov_b32 s16, -1
	s_and_saveexec_b32 s17, s6
	s_cbranch_execz .LBB12_193
; %bb.192:                              ;   in Loop: Header=BB12_107 Depth=1
	ds_load_b32 v10, v0 offset:720
	s_waitcnt lgkmcnt(0)
	v_and_b32_e32 v10, 15, v10
	s_delay_alu instid0(VALU_DEP_1)
	v_cmp_eq_u32_e32 vcc_lo, 0, v10
	s_or_not1_b32 s16, vcc_lo, exec_lo
.LBB12_193:                             ;   in Loop: Header=BB12_107 Depth=1
	s_or_b32 exec_lo, exec_lo, s17
	s_and_saveexec_b32 s17, s7
	s_cbranch_execz .LBB12_195
; %bb.194:                              ;   in Loop: Header=BB12_107 Depth=1
	ds_load_b32 v10, v0 offset:784
	s_waitcnt lgkmcnt(0)
	v_and_b32_e32 v10, 15, v10
	s_delay_alu instid0(VALU_DEP_1) | instskip(SKIP_3) | instid1(SALU_CYCLE_1)
	v_cmp_eq_u32_e32 vcc_lo, 0, v10
	s_and_b32 s18, s16, vcc_lo
	s_and_not1_b32 s16, s16, exec_lo
	s_and_b32 s18, s18, exec_lo
	s_or_b32 s16, s16, s18
.LBB12_195:                             ;   in Loop: Header=BB12_107 Depth=1
	s_or_b32 exec_lo, exec_lo, s17
	s_xor_b32 s16, s16, -1
	v_dual_mov_b32 v100, 0 :: v_dual_mov_b32 v101, v1
	v_cndmask_b32_e64 v10, 0, 1, s16
	;;#ASMSTART
	;;#ASMEND
	s_delay_alu instid0(VALU_DEP_1)
	v_cmp_ne_u32_e32 vcc_lo, 0, v10
	v_mov_b32_e32 v102, v0
	v_mov_b32_e32 v10, v51
	s_mov_b32 s16, -1
	s_cbranch_vccnz .LBB12_213
; %bb.196:                              ;   in Loop: Header=BB12_107 Depth=1
	v_ashrrev_i32_e32 v10, 31, v1
	s_mov_b32 s17, exec_lo
	s_delay_alu instid0(VALU_DEP_1) | instskip(NEXT) | instid1(VALU_DEP_1)
	v_lshrrev_b32_e32 v10, 21, v10
	v_add_nc_u32_e32 v10, v1, v10
	s_delay_alu instid0(VALU_DEP_1) | instskip(NEXT) | instid1(VALU_DEP_1)
	v_ashrrev_i32_e32 v100, 11, v10
	v_sub_nc_u32_e32 v112, v100, v51
	s_delay_alu instid0(VALU_DEP_1)
	v_cmpx_lt_i32_e32 0, v112
	s_cbranch_execz .LBB12_201
; %bb.197:                              ;   in Loop: Header=BB12_107 Depth=1
	s_cbranch_execnz .LBB12_1477
; %bb.198:                              ;   in Loop: Header=BB12_107 Depth=1
	ds_load_b64 v[10:11], v0
	ds_load_b128 v[113:116], v0
	s_mov_b32 s18, 0
	s_waitcnt lgkmcnt(1)
	v_add_co_u32 v10, vcc_lo, v10, v55
	v_add_co_ci_u32_e32 v11, vcc_lo, v11, v65, vcc_lo
	s_waitcnt lgkmcnt(0)
	v_add_co_u32 v12, vcc_lo, v113, v55
	v_add_co_ci_u32_e32 v13, vcc_lo, v114, v65, vcc_lo
	v_add_co_u32 v37, vcc_lo, v115, v55
	v_add_co_ci_u32_e32 v38, vcc_lo, v116, v65, vcc_lo
	s_set_inst_prefetch_distance 0x1
.LBB12_199:                             ;   Parent Loop BB12_107 Depth=1
                                        ; =>  This Inner Loop Header: Depth=2
	s_clause 0x3
	global_load_b128 v[113:116], v[10:11], off slc dlc
	global_load_b128 v[128:131], v[10:11], off offset:512 slc dlc
	global_load_b128 v[132:135], v[10:11], off offset:1024 slc dlc
	;; [unrolled: 1-line block ×3, first 2 shown]
	v_sub_nc_u32_e32 v112, v112, v54
	v_add_co_u32 v10, vcc_lo, v10, v67
	v_add_co_ci_u32_e32 v11, vcc_lo, v11, v68, vcc_lo
	s_delay_alu instid0(VALU_DEP_3)
	v_cmp_gt_i32_e32 vcc_lo, 1, v112
	s_waitcnt vmcnt(3)
	global_store_b128 v[12:13], v[113:116], off glc slc dlc
	s_waitcnt vmcnt(2)
	global_store_b128 v[12:13], v[128:131], off offset:512 glc slc dlc
	s_waitcnt vmcnt(1)
	global_store_b128 v[12:13], v[132:135], off offset:1024 glc slc dlc
	;; [unrolled: 2-line block ×3, first 2 shown]
	s_clause 0x3
	global_store_b128 v[37:38], v[113:116], off glc slc dlc
	global_store_b128 v[37:38], v[128:131], off offset:512 glc slc dlc
	global_store_b128 v[37:38], v[132:135], off offset:1024 glc slc dlc
	;; [unrolled: 1-line block ×3, first 2 shown]
	v_add_co_u32 v12, s16, v12, v67
	s_delay_alu instid0(VALU_DEP_1) | instskip(SKIP_1) | instid1(VALU_DEP_1)
	v_add_co_ci_u32_e64 v13, s16, v13, v68, s16
	v_add_co_u32 v37, s16, v37, v67
	v_add_co_ci_u32_e64 v38, s16, v38, v68, s16
	s_or_b32 s18, vcc_lo, s18
	s_delay_alu instid0(SALU_CYCLE_1)
	s_and_not1_b32 exec_lo, exec_lo, s18
	s_cbranch_execnz .LBB12_199
; %bb.200:                              ;   in Loop: Header=BB12_107 Depth=1
	s_set_inst_prefetch_distance 0x2
	s_or_b32 exec_lo, exec_lo, s18
.LBB12_201:                             ;   in Loop: Header=BB12_107 Depth=1
	s_delay_alu instid0(SALU_CYCLE_1) | instskip(SKIP_3) | instid1(VALU_DEP_1)
	s_or_b32 exec_lo, exec_lo, s17
	v_dual_mov_b32 v100, 0 :: v_dual_lshlrev_b32 v103, 11, v100
	s_mov_b32 s16, 0
	s_mov_b32 s30, exec_lo
                                        ; implicit-def: $vgpr101
                                        ; implicit-def: $vgpr102
                                        ; implicit-def: $vgpr10
	v_cmpx_ne_u32_e64 v1, v103
	s_cbranch_execz .LBB12_212
; %bb.202:                              ;   in Loop: Header=BB12_107 Depth=1
	v_lshlrev_b32_e32 v10, 5, v112
	v_sub_nc_u32_e32 v12, v1, v103
	s_mov_b32 s31, exec_lo
	s_delay_alu instid0(VALU_DEP_2) | instskip(NEXT) | instid1(VALU_DEP_2)
	v_sub_nc_u32_e32 v10, v53, v10
	v_ashrrev_i32_e32 v13, 31, v12
	s_delay_alu instid0(VALU_DEP_2) | instskip(NEXT) | instid1(VALU_DEP_2)
	v_ashrrev_i32_e32 v11, 31, v10
	v_lshrrev_b32_e32 v13, 23, v13
	s_delay_alu instid0(VALU_DEP_2) | instskip(NEXT) | instid1(VALU_DEP_2)
	v_lshrrev_b32_e32 v11, 27, v11
	v_add_nc_u32_e32 v13, v12, v13
	s_delay_alu instid0(VALU_DEP_2) | instskip(NEXT) | instid1(VALU_DEP_2)
	v_add_nc_u32_e32 v11, v10, v11
	v_and_b32_e32 v112, 0xfffffe00, v13
	v_ashrrev_i32_e32 v13, 9, v13
	s_delay_alu instid0(VALU_DEP_3) | instskip(NEXT) | instid1(VALU_DEP_3)
	v_and_b32_e32 v37, 0xffffffe0, v11
	v_sub_nc_u32_e32 v114, v12, v112
	v_ashrrev_i32_e32 v11, 5, v11
	s_delay_alu instid0(VALU_DEP_3) | instskip(NEXT) | instid1(VALU_DEP_3)
	v_sub_nc_u32_e32 v113, v10, v37
	v_cmp_lt_i32_e64 s16, 15, v114
	s_delay_alu instid0(VALU_DEP_2) | instskip(NEXT) | instid1(VALU_DEP_2)
	v_lshlrev_b32_e32 v10, 4, v113
	v_add_co_ci_u32_e64 v13, vcc_lo, 0, v13, s16
	s_delay_alu instid0(VALU_DEP_2) | instskip(NEXT) | instid1(VALU_DEP_2)
	v_lshl_add_u32 v10, v11, 9, v10
	v_sub_nc_u32_e32 v115, v13, v11
	s_delay_alu instid0(VALU_DEP_2) | instskip(NEXT) | instid1(VALU_DEP_1)
	v_sub_nc_u32_e32 v100, v12, v10
	v_cmpx_lt_i32_e32 15, v100
	s_cbranch_execz .LBB12_209
; %bb.203:                              ;   in Loop: Header=BB12_107 Depth=1
	s_cbranch_execnz .LBB12_1529
; %bb.204:                              ;   in Loop: Header=BB12_107 Depth=1
	ds_load_b64 v[11:12], v0
	ds_load_b128 v[116:119], v0
	v_add_nc_u32_e32 v10, v10, v103
	s_mov_b32 s34, 0
	s_delay_alu instid0(VALU_DEP_1) | instskip(SKIP_2) | instid1(VALU_DEP_2)
	v_ashrrev_i32_e32 v13, 31, v10
	s_waitcnt lgkmcnt(1)
	v_add_co_u32 v37, vcc_lo, v11, v10
	v_add_co_ci_u32_e32 v38, vcc_lo, v12, v13, vcc_lo
	s_waitcnt lgkmcnt(0)
	v_add_co_u32 v101, vcc_lo, v116, v10
	v_add_co_ci_u32_e32 v102, vcc_lo, v117, v13, vcc_lo
	v_add_co_u32 v116, vcc_lo, v118, v10
	v_add_co_ci_u32_e32 v117, vcc_lo, v119, v13, vcc_lo
.LBB12_205:                             ;   Parent Loop BB12_107 Depth=1
                                        ; =>  This Loop Header: Depth=2
                                        ;       Child Loop BB12_206 Depth 3
	global_load_b128 v[10:13], v[37:38], off slc dlc
	s_mov_b64 s[18:19], 0
	s_mov_b32 s17, -1
.LBB12_206:                             ;   Parent Loop BB12_107 Depth=1
                                        ;     Parent Loop BB12_205 Depth=2
                                        ; =>    This Inner Loop Header: Depth=3
	s_cmp_eq_u32 s18, 0
	v_cndmask_b32_e64 v128, 0, 1, s17
	s_cselect_b32 vcc_lo, -1, 0
	s_cmp_eq_u32 s18, 1
	s_cselect_b32 s17, -1, 0
	s_delay_alu instid0(SALU_CYCLE_1) | instskip(SKIP_1) | instid1(VALU_DEP_2)
	v_cndmask_b32_e64 v118, v101, v116, s17
	v_cndmask_b32_e64 v119, v102, v117, s17
	v_add_co_u32 v129, s18, 0x200, v118
	s_delay_alu instid0(VALU_DEP_1) | instskip(SKIP_1) | instid1(VALU_DEP_3)
	v_add_co_ci_u32_e64 v130, s18, 0, v119, s18
	v_cmp_ne_u32_e64 s18, 1, v128
	v_cndmask_b32_e64 v116, v116, v129, s17
	v_cndmask_b32_e32 v101, v101, v129, vcc_lo
	s_delay_alu instid0(VALU_DEP_4)
	v_cndmask_b32_e64 v117, v117, v130, s17
	v_cndmask_b32_e32 v102, v102, v130, vcc_lo
	s_mov_b32 s17, 0
	s_and_b32 vcc_lo, exec_lo, s18
	s_mov_b64 s[18:19], 1
	s_waitcnt vmcnt(0)
	global_store_b128 v[118:119], v[10:13], off glc slc dlc
	s_cbranch_vccz .LBB12_206
; %bb.207:                              ;   in Loop: Header=BB12_205 Depth=2
	v_add_co_u32 v101, vcc_lo, v101, v66
	v_sub_nc_u32_e32 v100, v100, v64
	v_add_co_ci_u32_e32 v102, vcc_lo, v102, v69, vcc_lo
	v_add_co_u32 v116, vcc_lo, v116, v66
	v_add_co_ci_u32_e32 v117, vcc_lo, v117, v69, vcc_lo
	s_delay_alu instid0(VALU_DEP_4) | instskip(SKIP_1) | instid1(VALU_DEP_1)
	v_cmp_gt_i32_e32 vcc_lo, 16, v100
	v_add_co_u32 v37, s17, v71, v37
	v_add_co_ci_u32_e64 v38, s17, v80, v38, s17
	v_sub_nc_u32_e32 v115, v115, v54
	s_or_b32 s34, vcc_lo, s34
	s_delay_alu instid0(SALU_CYCLE_1)
	s_and_not1_b32 exec_lo, exec_lo, s34
	s_cbranch_execnz .LBB12_205
; %bb.208:                              ;   in Loop: Header=BB12_107 Depth=1
	s_or_b32 exec_lo, exec_lo, s34
.LBB12_209:                             ;   in Loop: Header=BB12_107 Depth=1
	s_delay_alu instid0(SALU_CYCLE_1) | instskip(SKIP_3) | instid1(VALU_DEP_1)
	s_or_b32 exec_lo, exec_lo, s31
	v_dual_mov_b32 v100, 0 :: v_dual_and_b32 v11, 15, v1
	s_mov_b32 s17, 0
	s_mov_b32 s18, exec_lo
                                        ; implicit-def: $vgpr102
                                        ; implicit-def: $vgpr10
	v_cndmask_b32_e64 v101, v114, v11, s16
	s_delay_alu instid0(VALU_DEP_1)
	v_cmpx_ne_u32_e32 0, v101
	s_cbranch_execz .LBB12_211
; %bb.210:                              ;   in Loop: Header=BB12_107 Depth=1
	v_cmp_lt_i32_e32 vcc_lo, 0, v115
	v_sub_nc_u32_e32 v11, v114, v11
	s_mov_b32 s17, exec_lo
	v_cndmask_b32_e32 v10, 0, v54, vcc_lo
	s_delay_alu instid0(VALU_DEP_2) | instskip(NEXT) | instid1(VALU_DEP_2)
	v_cndmask_b32_e64 v11, 0, v11, s16
	v_sub_nc_u32_e32 v10, v10, v115
	s_delay_alu instid0(VALU_DEP_2) | instskip(NEXT) | instid1(VALU_DEP_2)
	v_add3_u32 v100, v112, v103, v11
	v_lshl_add_u32 v102, v10, 5, v113
	s_delay_alu instid0(VALU_DEP_1) | instskip(NEXT) | instid1(VALU_DEP_1)
	v_ashrrev_i32_e32 v10, 31, v102
	v_lshrrev_b32_e32 v10, 27, v10
	s_delay_alu instid0(VALU_DEP_1) | instskip(NEXT) | instid1(VALU_DEP_1)
	v_add_nc_u32_e32 v10, v102, v10
	v_ashrrev_i32_e32 v10, 5, v10
.LBB12_211:                             ;   in Loop: Header=BB12_107 Depth=1
	s_or_b32 exec_lo, exec_lo, s18
	s_delay_alu instid0(SALU_CYCLE_1)
	s_and_b32 s16, s17, exec_lo
.LBB12_212:                             ;   in Loop: Header=BB12_107 Depth=1
	s_or_b32 exec_lo, exec_lo, s30
.LBB12_213:                             ;   in Loop: Header=BB12_107 Depth=1
	s_and_saveexec_b32 s30, s16
	s_cbranch_execz .LBB12_226
; %bb.214:                              ;   in Loop: Header=BB12_107 Depth=1
	v_ashrrev_i32_e32 v11, 31, v101
	s_mov_b32 s17, exec_lo
	s_delay_alu instid0(VALU_DEP_1) | instskip(NEXT) | instid1(VALU_DEP_1)
	v_lshrrev_b32_e32 v11, 22, v11
	v_add_nc_u32_e32 v11, v101, v11
	s_delay_alu instid0(VALU_DEP_1) | instskip(NEXT) | instid1(VALU_DEP_1)
	v_ashrrev_i32_e32 v112, 10, v11
	v_sub_nc_u32_e32 v103, v112, v10
	s_delay_alu instid0(VALU_DEP_1)
	v_cmpx_lt_i32_e32 0, v103
	s_cbranch_execz .LBB12_219
; %bb.215:                              ;   in Loop: Header=BB12_107 Depth=1
	s_cbranch_execnz .LBB12_1467
; %bb.216:                              ;   in Loop: Header=BB12_107 Depth=1
	v_ashrrev_i32_e32 v11, 31, v102
	v_lshlrev_b32_e32 v10, 10, v10
	s_mov_b32 s18, 0
	ds_load_b128 v[113:116], v0
	v_lshrrev_b32_e32 v11, 27, v11
	s_delay_alu instid0(VALU_DEP_1) | instskip(SKIP_2) | instid1(VALU_DEP_1)
	v_add_nc_u32_e32 v13, v102, v11
	ds_load_b64 v[11:12], v0
	v_and_b32_e32 v13, 0xffffffe0, v13
	v_sub_nc_u32_e32 v13, v102, v13
	s_delay_alu instid0(VALU_DEP_1) | instskip(NEXT) | instid1(VALU_DEP_1)
	v_add3_u32 v37, v100, v13, v10
	v_ashrrev_i32_e32 v38, 31, v37
	s_waitcnt lgkmcnt(0)
	v_add_co_u32 v117, vcc_lo, 0x3e0, v11
	v_add_co_ci_u32_e32 v118, vcc_lo, 0, v12, vcc_lo
	v_add_co_u32 v10, vcc_lo, v113, v37
	v_add_co_ci_u32_e32 v11, vcc_lo, v114, v38, vcc_lo
	;; [unrolled: 2-line block ×4, first 2 shown]
.LBB12_217:                             ;   Parent Loop BB12_107 Depth=1
                                        ; =>  This Inner Loop Header: Depth=2
	s_delay_alu instid0(VALU_DEP_2) | instskip(NEXT) | instid1(VALU_DEP_2)
	v_add_co_u32 v113, vcc_lo, 0xfffffc20, v37
	v_add_co_ci_u32_e32 v114, vcc_lo, -1, v38, vcc_lo
	v_add_co_u32 v115, vcc_lo, 0xfffffc40, v37
	v_add_co_ci_u32_e32 v116, vcc_lo, -1, v38, vcc_lo
	;; [unrolled: 2-line block ×31, first 2 shown]
	flat_load_u8 v119, v[37:38] slc dlc
	flat_load_u8 v113, v[113:114] slc dlc
	;; [unrolled: 1-line block ×32, first 2 shown]
	v_sub_nc_u32_e32 v103, v103, v54
	v_add_co_u32 v37, vcc_lo, v37, v82
	v_add_co_ci_u32_e32 v38, vcc_lo, v38, v83, vcc_lo
	s_delay_alu instid0(VALU_DEP_3)
	v_cmp_gt_i32_e32 vcc_lo, 1, v103
	s_waitcnt vmcnt(30) lgkmcnt(30)
	flat_store_b8 v[10:11], v113 glc slc dlc
	s_waitcnt vmcnt(29) lgkmcnt(30)
	flat_store_b8 v[10:11], v114 offset:32 glc slc dlc
	s_waitcnt vmcnt(28) lgkmcnt(30)
	flat_store_b8 v[10:11], v115 offset:64 glc slc dlc
	;; [unrolled: 2-line block ×29, first 2 shown]
	s_waitcnt vmcnt(0) lgkmcnt(30)
	s_clause 0x1
	flat_store_b8 v[10:11], v176 offset:960 glc slc dlc
	flat_store_b8 v[10:11], v119 offset:992 glc slc dlc
	s_clause 0x1f
	flat_store_b8 v[12:13], v113 glc slc dlc
	flat_store_b8 v[12:13], v114 offset:32 glc slc dlc
	flat_store_b8 v[12:13], v115 offset:64 glc slc dlc
	;; [unrolled: 1-line block ×31, first 2 shown]
	v_add_co_u32 v10, s16, v10, v82
	s_delay_alu instid0(VALU_DEP_1) | instskip(SKIP_1) | instid1(VALU_DEP_1)
	v_add_co_ci_u32_e64 v11, s16, v11, v83, s16
	v_add_co_u32 v12, s16, v12, v82
	v_add_co_ci_u32_e64 v13, s16, v13, v83, s16
	s_or_b32 s18, vcc_lo, s18
	s_delay_alu instid0(SALU_CYCLE_1)
	s_and_not1_b32 exec_lo, exec_lo, s18
	s_cbranch_execnz .LBB12_217
; %bb.218:                              ;   in Loop: Header=BB12_107 Depth=1
	s_or_b32 exec_lo, exec_lo, s18
.LBB12_219:                             ;   in Loop: Header=BB12_107 Depth=1
	s_delay_alu instid0(SALU_CYCLE_1) | instskip(SKIP_1) | instid1(VALU_DEP_1)
	s_or_b32 exec_lo, exec_lo, s17
	v_lshlrev_b32_e32 v10, 10, v112
	v_cmp_ne_u32_e32 vcc_lo, v101, v10
	s_and_b32 exec_lo, exec_lo, vcc_lo
	s_cbranch_execz .LBB12_226
; %bb.220:                              ;   in Loop: Header=BB12_107 Depth=1
	v_ashrrev_i32_e32 v11, 31, v102
	v_lshlrev_b32_e32 v12, 5, v103
	s_delay_alu instid0(VALU_DEP_2) | instskip(NEXT) | instid1(VALU_DEP_1)
	v_lshrrev_b32_e32 v11, 27, v11
	v_add_nc_u32_e32 v11, v102, v11
	s_delay_alu instid0(VALU_DEP_1) | instskip(NEXT) | instid1(VALU_DEP_1)
	v_and_b32_e32 v11, 0xffffffe0, v11
	v_sub_nc_u32_e32 v11, v102, v11
	s_delay_alu instid0(VALU_DEP_1) | instskip(NEXT) | instid1(VALU_DEP_1)
	v_sub_nc_u32_e32 v11, v11, v12
	v_add_nc_u32_e32 v10, v10, v11
	s_delay_alu instid0(VALU_DEP_1) | instskip(NEXT) | instid1(VALU_DEP_1)
	v_sub_nc_u32_e32 v12, v101, v10
	v_cmp_lt_i32_e32 vcc_lo, 0, v12
	s_and_b32 exec_lo, exec_lo, vcc_lo
	s_cbranch_execz .LBB12_226
; %bb.221:                              ;   in Loop: Header=BB12_107 Depth=1
	s_cbranch_execnz .LBB12_1517
; %bb.222:                              ;   in Loop: Header=BB12_107 Depth=1
	ds_load_b64 v[37:38], v0
	ds_load_b128 v[112:115], v0
	v_add_nc_u32_e32 v100, v10, v100
	s_mov_b32 s31, 0
	s_delay_alu instid0(VALU_DEP_1) | instskip(SKIP_2) | instid1(VALU_DEP_2)
	v_ashrrev_i32_e32 v101, 31, v100
	s_waitcnt lgkmcnt(1)
	v_add_co_u32 v10, vcc_lo, v37, v100
	v_add_co_ci_u32_e32 v11, vcc_lo, v38, v101, vcc_lo
	s_waitcnt lgkmcnt(0)
	v_add_co_u32 v13, vcc_lo, v112, v100
	v_add_co_ci_u32_e32 v37, vcc_lo, v113, v101, vcc_lo
	v_add_co_u32 v38, vcc_lo, v114, v100
	v_add_co_ci_u32_e32 v100, vcc_lo, v115, v101, vcc_lo
	s_set_inst_prefetch_distance 0x1
.LBB12_223:                             ;   Parent Loop BB12_107 Depth=1
                                        ; =>  This Loop Header: Depth=2
                                        ;       Child Loop BB12_224 Depth 3
	flat_load_u8 v101, v[10:11] slc dlc
	s_mov_b64 s[18:19], 0
	s_mov_b32 s34, -1
.LBB12_224:                             ;   Parent Loop BB12_107 Depth=1
                                        ;     Parent Loop BB12_223 Depth=2
                                        ; =>    This Inner Loop Header: Depth=3
	s_cmp_eq_u32 s18, 1
	s_cselect_b32 vcc_lo, -1, 0
	s_cmp_eq_u32 s18, 0
	v_cndmask_b32_e32 v102, v13, v38, vcc_lo
	v_cndmask_b32_e32 v103, v37, v100, vcc_lo
	s_mov_b64 s[18:19], 1
	s_delay_alu instid0(VALU_DEP_2) | instskip(NEXT) | instid1(VALU_DEP_1)
	v_add_co_u32 v112, s16, v102, 32
	v_add_co_ci_u32_e64 v113, s16, 0, v103, s16
	s_cselect_b32 s16, -1, 0
	s_delay_alu instid0(VALU_DEP_2) | instskip(SKIP_1) | instid1(VALU_DEP_3)
	v_cndmask_b32_e32 v38, v38, v112, vcc_lo
	v_cndmask_b32_e64 v13, v13, v112, s16
	v_cndmask_b32_e32 v100, v100, v113, vcc_lo
	v_cndmask_b32_e64 v37, v37, v113, s16
	s_and_b32 s17, exec_lo, s34
	s_mov_b32 s34, 0
	s_mov_b32 vcc_lo, s17
	s_waitcnt vmcnt(0) lgkmcnt(0)
	flat_store_b8 v[102:103], v101 glc slc dlc
	s_cbranch_vccnz .LBB12_224
; %bb.225:                              ;   in Loop: Header=BB12_223 Depth=2
	v_add_co_u32 v13, vcc_lo, v13, v81
	v_sub_nc_u32_e32 v12, v12, v70
	v_add_co_ci_u32_e32 v37, vcc_lo, v37, v84, vcc_lo
	v_add_co_u32 v38, vcc_lo, v38, v81
	v_add_co_ci_u32_e32 v100, vcc_lo, v100, v84, vcc_lo
	s_delay_alu instid0(VALU_DEP_4) | instskip(SKIP_1) | instid1(VALU_DEP_1)
	v_cmp_gt_i32_e32 vcc_lo, 1, v12
	v_add_co_u32 v10, s16, v86, v10
	v_add_co_ci_u32_e64 v11, s16, v87, v11, s16
	s_or_b32 s31, vcc_lo, s31
	s_delay_alu instid0(SALU_CYCLE_1)
	s_and_not1_b32 exec_lo, exec_lo, s31
	s_cbranch_execnz .LBB12_223
.LBB12_226:                             ;   in Loop: Header=BB12_107 Depth=1
	s_set_inst_prefetch_distance 0x2
	s_or_b32 exec_lo, exec_lo, s30
	s_mov_b32 s16, 0
	s_branch .LBB12_228
.LBB12_227:                             ;   in Loop: Header=BB12_107 Depth=1
	s_mov_b32 s16, -1
.LBB12_228:                             ;   in Loop: Header=BB12_107 Depth=1
	s_delay_alu instid0(SALU_CYCLE_1)
	s_and_b32 vcc_lo, exec_lo, s16
	s_cbranch_vccz .LBB12_261
; %bb.229:                              ;   in Loop: Header=BB12_107 Depth=1
	s_mov_b32 s16, -1
	s_and_saveexec_b32 s17, s6
	s_cbranch_execz .LBB12_231
; %bb.230:                              ;   in Loop: Header=BB12_107 Depth=1
	ds_load_b32 v10, v0 offset:720
	s_waitcnt lgkmcnt(0)
	v_and_b32_e32 v10, 15, v10
	s_delay_alu instid0(VALU_DEP_1)
	v_cmp_eq_u32_e32 vcc_lo, 0, v10
	s_or_not1_b32 s16, vcc_lo, exec_lo
.LBB12_231:                             ;   in Loop: Header=BB12_107 Depth=1
	s_or_b32 exec_lo, exec_lo, s17
	s_and_saveexec_b32 s17, s10
	s_cbranch_execz .LBB12_233
; %bb.232:                              ;   in Loop: Header=BB12_107 Depth=1
	ds_load_b32 v10, v0 offset:784
	s_waitcnt lgkmcnt(0)
	v_and_b32_e32 v10, 15, v10
	s_delay_alu instid0(VALU_DEP_1) | instskip(SKIP_3) | instid1(SALU_CYCLE_1)
	v_cmp_eq_u32_e32 vcc_lo, 0, v10
	s_and_b32 s18, s16, vcc_lo
	s_and_not1_b32 s16, s16, exec_lo
	s_and_b32 s18, s18, exec_lo
	s_or_b32 s16, s16, s18
.LBB12_233:                             ;   in Loop: Header=BB12_107 Depth=1
	s_or_b32 exec_lo, exec_lo, s17
	s_xor_b32 s16, s16, -1
	v_dual_mov_b32 v38, 0 :: v_dual_mov_b32 v37, v1
	v_cndmask_b32_e64 v10, 0, 1, s16
	;;#ASMSTART
	;;#ASMEND
	s_delay_alu instid0(VALU_DEP_1)
	v_cmp_ne_u32_e32 vcc_lo, 0, v10
	v_dual_mov_b32 v100, v0 :: v_dual_mov_b32 v103, v51
	s_mov_b32 s16, -1
	s_cbranch_vccnz .LBB12_249
; %bb.234:                              ;   in Loop: Header=BB12_107 Depth=1
	v_ashrrev_i32_e32 v10, 31, v1
	s_mov_b32 s16, exec_lo
	s_delay_alu instid0(VALU_DEP_1) | instskip(NEXT) | instid1(VALU_DEP_1)
	v_lshrrev_b32_e32 v10, 20, v10
	v_add_nc_u32_e32 v10, v1, v10
	s_delay_alu instid0(VALU_DEP_1) | instskip(NEXT) | instid1(VALU_DEP_1)
	v_ashrrev_i32_e32 v37, 12, v10
	v_sub_nc_u32_e32 v101, v37, v51
	s_delay_alu instid0(VALU_DEP_1)
	v_cmpx_lt_i32_e32 0, v101
	s_cbranch_execz .LBB12_239
; %bb.235:                              ;   in Loop: Header=BB12_107 Depth=1
	s_cbranch_execnz .LBB12_1489
; %bb.236:                              ;   in Loop: Header=BB12_107 Depth=1
	ds_load_b64 v[10:11], v0
	s_mov_b32 s17, 0
	s_waitcnt lgkmcnt(0)
	v_dual_mov_b32 v13, v11 :: v_dual_mov_b32 v12, v10
.LBB12_237:                             ;   Parent Loop BB12_107 Depth=1
                                        ; =>  This Inner Loop Header: Depth=2
	s_delay_alu instid0(VALU_DEP_1) | instskip(NEXT) | instid1(VALU_DEP_2)
	v_add_co_u32 v102, vcc_lo, v85, v12
	v_add_co_ci_u32_e32 v103, vcc_lo, v96, v13, vcc_lo
	v_sub_nc_u32_e32 v101, v101, v54
	s_clause 0x7
	global_load_b128 v[112:115], v[102:103], off slc dlc
	global_load_b128 v[116:119], v[102:103], off offset:512 slc dlc
	global_load_b128 v[128:131], v[102:103], off offset:1024 slc dlc
	;; [unrolled: 1-line block ×7, first 2 shown]
	v_add_co_u32 v102, vcc_lo, v85, v10
	v_add_co_ci_u32_e32 v103, vcc_lo, v96, v11, vcc_lo
	v_add_co_u32 v12, vcc_lo, v12, v97
	v_add_co_ci_u32_e32 v13, vcc_lo, v13, v98, vcc_lo
	;; [unrolled: 2-line block ×3, first 2 shown]
	v_cmp_gt_i32_e32 vcc_lo, 1, v101
	s_waitcnt vmcnt(7)
	global_store_b128 v[102:103], v[112:115], off glc slc dlc
	s_waitcnt vmcnt(6)
	global_store_b128 v[102:103], v[116:119], off offset:512 glc slc dlc
	s_waitcnt vmcnt(5)
	global_store_b128 v[102:103], v[128:131], off offset:1024 glc slc dlc
	;; [unrolled: 2-line block ×7, first 2 shown]
	s_or_b32 s17, vcc_lo, s17
	s_delay_alu instid0(SALU_CYCLE_1)
	s_and_not1_b32 exec_lo, exec_lo, s17
	s_cbranch_execnz .LBB12_237
; %bb.238:                              ;   in Loop: Header=BB12_107 Depth=1
	s_or_b32 exec_lo, exec_lo, s17
.LBB12_239:                             ;   in Loop: Header=BB12_107 Depth=1
	s_delay_alu instid0(SALU_CYCLE_1) | instskip(SKIP_4) | instid1(VALU_DEP_2)
	s_or_b32 exec_lo, exec_lo, s16
	v_lshlrev_b32_e32 v12, 12, v37
	v_mov_b32_e32 v38, 0
	s_mov_b32 s16, 0
	s_mov_b32 s18, exec_lo
                                        ; implicit-def: $vgpr37
                                        ; implicit-def: $vgpr100
                                        ; implicit-def: $vgpr103
	v_cmpx_ne_u32_e64 v1, v12
	s_cbranch_execz .LBB12_248
; %bb.240:                              ;   in Loop: Header=BB12_107 Depth=1
	v_lshlrev_b32_e32 v10, 5, v101
	v_sub_nc_u32_e32 v37, v1, v12
	s_mov_b32 s19, exec_lo
	s_delay_alu instid0(VALU_DEP_2) | instskip(NEXT) | instid1(VALU_DEP_2)
	v_sub_nc_u32_e32 v10, v53, v10
	v_ashrrev_i32_e32 v13, 31, v37
	s_delay_alu instid0(VALU_DEP_2) | instskip(NEXT) | instid1(VALU_DEP_2)
	v_ashrrev_i32_e32 v11, 31, v10
	v_lshrrev_b32_e32 v13, 23, v13
	s_delay_alu instid0(VALU_DEP_2) | instskip(NEXT) | instid1(VALU_DEP_2)
	v_lshrrev_b32_e32 v11, 27, v11
	v_add_nc_u32_e32 v100, v37, v13
	s_delay_alu instid0(VALU_DEP_2) | instskip(NEXT) | instid1(VALU_DEP_2)
	v_add_nc_u32_e32 v11, v10, v11
	v_and_b32_e32 v13, 0xfffffe00, v100
	v_ashrrev_i32_e32 v100, 9, v100
	s_delay_alu instid0(VALU_DEP_3) | instskip(NEXT) | instid1(VALU_DEP_3)
	v_and_b32_e32 v38, 0xffffffe0, v11
	v_sub_nc_u32_e32 v102, v37, v13
	s_delay_alu instid0(VALU_DEP_2) | instskip(SKIP_1) | instid1(VALU_DEP_3)
	v_sub_nc_u32_e32 v101, v10, v38
	v_ashrrev_i32_e32 v10, 5, v11
	v_cmp_lt_i32_e32 vcc_lo, 15, v102
	s_delay_alu instid0(VALU_DEP_3) | instskip(NEXT) | instid1(VALU_DEP_1)
	v_lshlrev_b32_e32 v11, 4, v101
	v_lshl_add_u32 v38, v10, 9, v11
	v_add_co_ci_u32_e64 v11, s16, 0, v100, vcc_lo
	s_delay_alu instid0(VALU_DEP_2) | instskip(NEXT) | instid1(VALU_DEP_2)
	v_sub_nc_u32_e32 v37, v37, v38
	v_sub_nc_u32_e32 v112, v11, v10
	s_delay_alu instid0(VALU_DEP_2)
	v_cmpx_lt_i32_e32 15, v37
	s_cbranch_execz .LBB12_245
; %bb.241:                              ;   in Loop: Header=BB12_107 Depth=1
	s_cbranch_execnz .LBB12_1539
; %bb.242:                              ;   in Loop: Header=BB12_107 Depth=1
	ds_load_b64 v[10:11], v0
	v_add_nc_u32_e32 v38, v38, v12
	s_mov_b32 s30, 0
	s_delay_alu instid0(VALU_DEP_1)
	v_ashrrev_i32_e32 v100, 31, v38
.LBB12_243:                             ;   Parent Loop BB12_107 Depth=1
                                        ; =>  This Inner Loop Header: Depth=2
	s_waitcnt lgkmcnt(0)
	v_add_co_u32 v117, s16, v10, v38
	s_delay_alu instid0(VALU_DEP_1)
	v_add_co_ci_u32_e64 v118, s16, v11, v100, s16
	v_sub_nc_u32_e32 v37, v37, v64
	v_add_co_u32 v38, s17, v38, v71
	global_load_b128 v[113:116], v[117:118], off slc dlc
	v_sub_nc_u32_e32 v112, v112, v54
	v_cmp_gt_i32_e64 s16, 16, v37
	v_add_co_ci_u32_e64 v100, s17, v100, v80, s17
	s_delay_alu instid0(VALU_DEP_2)
	s_or_b32 s30, s16, s30
	s_waitcnt vmcnt(0)
	global_store_b128 v[117:118], v[113:116], off glc slc dlc
	s_and_not1_b32 exec_lo, exec_lo, s30
	s_cbranch_execnz .LBB12_243
; %bb.244:                              ;   in Loop: Header=BB12_107 Depth=1
	s_or_b32 exec_lo, exec_lo, s30
.LBB12_245:                             ;   in Loop: Header=BB12_107 Depth=1
	s_delay_alu instid0(SALU_CYCLE_1) | instskip(SKIP_3) | instid1(VALU_DEP_1)
	s_or_b32 exec_lo, exec_lo, s19
	v_and_b32_e32 v10, 15, v1
	s_mov_b32 s17, 0
	s_mov_b32 s19, exec_lo
                                        ; implicit-def: $vgpr100
                                        ; implicit-def: $vgpr103
	v_dual_mov_b32 v38, 0 :: v_dual_cndmask_b32 v37, v102, v10
	s_delay_alu instid0(VALU_DEP_1)
	v_cmpx_ne_u32_e32 0, v37
; %bb.246:                              ;   in Loop: Header=BB12_107 Depth=1
	v_cmp_lt_i32_e64 s16, 0, v112
	v_sub_nc_u32_e32 v10, v102, v10
	s_mov_b32 s17, exec_lo
	s_delay_alu instid0(VALU_DEP_2) | instskip(NEXT) | instid1(VALU_DEP_1)
	v_cndmask_b32_e64 v11, 0, v54, s16
	v_sub_nc_u32_e32 v11, v11, v112
	s_delay_alu instid0(VALU_DEP_1) | instskip(NEXT) | instid1(VALU_DEP_1)
	v_lshl_add_u32 v100, v11, 5, v101
	v_ashrrev_i32_e32 v11, 31, v100
	s_delay_alu instid0(VALU_DEP_1) | instskip(NEXT) | instid1(VALU_DEP_1)
	v_lshrrev_b32_e32 v11, 27, v11
	v_dual_cndmask_b32 v10, 0, v10 :: v_dual_add_nc_u32 v11, v100, v11
	s_delay_alu instid0(VALU_DEP_1) | instskip(NEXT) | instid1(VALU_DEP_2)
	v_add3_u32 v38, v13, v12, v10
	v_ashrrev_i32_e32 v103, 5, v11
; %bb.247:                              ;   in Loop: Header=BB12_107 Depth=1
	s_or_b32 exec_lo, exec_lo, s19
	s_delay_alu instid0(SALU_CYCLE_1)
	s_and_b32 s16, s17, exec_lo
.LBB12_248:                             ;   in Loop: Header=BB12_107 Depth=1
	s_or_b32 exec_lo, exec_lo, s18
.LBB12_249:                             ;   in Loop: Header=BB12_107 Depth=1
	s_and_saveexec_b32 s17, s16
	s_cbranch_execz .LBB12_260
; %bb.250:                              ;   in Loop: Header=BB12_107 Depth=1
	v_ashrrev_i32_e32 v10, 31, v37
	s_mov_b32 s16, exec_lo
	s_delay_alu instid0(VALU_DEP_1) | instskip(NEXT) | instid1(VALU_DEP_1)
	v_lshrrev_b32_e32 v10, 22, v10
	v_add_nc_u32_e32 v10, v37, v10
	s_delay_alu instid0(VALU_DEP_1) | instskip(NEXT) | instid1(VALU_DEP_1)
	v_ashrrev_i32_e32 v102, 10, v10
	v_sub_nc_u32_e32 v101, v102, v103
	s_delay_alu instid0(VALU_DEP_1)
	v_cmpx_lt_i32_e32 0, v101
	s_cbranch_execz .LBB12_255
; %bb.251:                              ;   in Loop: Header=BB12_107 Depth=1
	s_cbranch_execnz .LBB12_1485
; %bb.252:                              ;   in Loop: Header=BB12_107 Depth=1
	v_ashrrev_i32_e32 v10, 31, v100
	s_mov_b32 s18, 0
	s_delay_alu instid0(VALU_DEP_1) | instskip(NEXT) | instid1(VALU_DEP_1)
	v_lshrrev_b32_e32 v10, 27, v10
	v_add_nc_u32_e32 v12, v100, v10
	ds_load_b64 v[10:11], v0
	v_lshlrev_b32_e32 v13, 10, v103
	v_and_b32_e32 v12, 0xffffffe0, v12
	s_delay_alu instid0(VALU_DEP_1) | instskip(NEXT) | instid1(VALU_DEP_1)
	v_sub_nc_u32_e32 v12, v100, v12
	v_add3_u32 v103, v38, v12, v13
	s_delay_alu instid0(VALU_DEP_1)
	v_ashrrev_i32_e32 v112, 31, v103
	s_waitcnt lgkmcnt(0)
	v_dual_mov_b32 v13, v11 :: v_dual_mov_b32 v12, v10
.LBB12_253:                             ;   Parent Loop BB12_107 Depth=1
                                        ; =>  This Inner Loop Header: Depth=2
	s_delay_alu instid0(VALU_DEP_1) | instskip(NEXT) | instid1(VALU_DEP_2)
	v_add_co_u32 v113, vcc_lo, v103, v12
	v_add_co_ci_u32_e32 v114, vcc_lo, v112, v13, vcc_lo
	v_sub_nc_u32_e32 v101, v101, v54
	s_clause 0x1f
	flat_load_u8 v115, v[113:114] slc dlc
	flat_load_u8 v116, v[113:114] offset:32 slc dlc
	flat_load_u8 v117, v[113:114] offset:64 slc dlc
	;; [unrolled: 1-line block ×31, first 2 shown]
	v_add_co_u32 v113, vcc_lo, v103, v10
	v_add_co_ci_u32_e32 v114, vcc_lo, v112, v11, vcc_lo
	v_add_co_u32 v12, vcc_lo, v12, v82
	v_add_co_ci_u32_e32 v13, vcc_lo, v13, v83, vcc_lo
	;; [unrolled: 2-line block ×3, first 2 shown]
	v_cmp_gt_i32_e32 vcc_lo, 1, v101
	s_waitcnt vmcnt(31) lgkmcnt(31)
	flat_store_b8 v[113:114], v115 glc slc dlc
	s_waitcnt vmcnt(30) lgkmcnt(31)
	flat_store_b8 v[113:114], v116 offset:32 glc slc dlc
	s_waitcnt vmcnt(29) lgkmcnt(31)
	flat_store_b8 v[113:114], v117 offset:64 glc slc dlc
	;; [unrolled: 2-line block ×31, first 2 shown]
	s_or_b32 s18, vcc_lo, s18
	s_delay_alu instid0(SALU_CYCLE_1)
	s_and_not1_b32 exec_lo, exec_lo, s18
	s_cbranch_execnz .LBB12_253
; %bb.254:                              ;   in Loop: Header=BB12_107 Depth=1
	s_or_b32 exec_lo, exec_lo, s18
.LBB12_255:                             ;   in Loop: Header=BB12_107 Depth=1
	s_delay_alu instid0(SALU_CYCLE_1) | instskip(SKIP_1) | instid1(VALU_DEP_1)
	s_or_b32 exec_lo, exec_lo, s16
	v_lshlrev_b32_e32 v10, 10, v102
	v_cmp_ne_u32_e32 vcc_lo, v37, v10
	s_and_b32 exec_lo, exec_lo, vcc_lo
	s_cbranch_execz .LBB12_260
; %bb.256:                              ;   in Loop: Header=BB12_107 Depth=1
	v_ashrrev_i32_e32 v11, 31, v100
	v_lshlrev_b32_e32 v12, 5, v101
	s_delay_alu instid0(VALU_DEP_2) | instskip(NEXT) | instid1(VALU_DEP_1)
	v_lshrrev_b32_e32 v11, 27, v11
	v_add_nc_u32_e32 v11, v100, v11
	s_delay_alu instid0(VALU_DEP_1) | instskip(NEXT) | instid1(VALU_DEP_1)
	v_and_b32_e32 v11, 0xffffffe0, v11
	v_sub_nc_u32_e32 v11, v100, v11
	s_delay_alu instid0(VALU_DEP_1) | instskip(NEXT) | instid1(VALU_DEP_1)
	v_sub_nc_u32_e32 v11, v11, v12
	v_add_nc_u32_e32 v13, v10, v11
	s_delay_alu instid0(VALU_DEP_1) | instskip(NEXT) | instid1(VALU_DEP_1)
	v_sub_nc_u32_e32 v12, v37, v13
	v_cmp_lt_i32_e32 vcc_lo, 0, v12
	s_and_b32 exec_lo, exec_lo, vcc_lo
	s_cbranch_execz .LBB12_260
; %bb.257:                              ;   in Loop: Header=BB12_107 Depth=1
	s_cbranch_execnz .LBB12_1535
; %bb.258:                              ;   in Loop: Header=BB12_107 Depth=1
	ds_load_b64 v[10:11], v0
	v_add_nc_u32_e32 v13, v13, v38
	s_mov_b32 s18, 0
	s_delay_alu instid0(VALU_DEP_1)
	v_ashrrev_i32_e32 v37, 31, v13
.LBB12_259:                             ;   Parent Loop BB12_107 Depth=1
                                        ; =>  This Inner Loop Header: Depth=2
	s_waitcnt lgkmcnt(0)
	v_add_co_u32 v100, vcc_lo, v10, v13
	s_delay_alu instid0(VALU_DEP_2)
	v_add_co_ci_u32_e32 v101, vcc_lo, v11, v37, vcc_lo
	v_sub_nc_u32_e32 v12, v12, v70
	v_add_co_u32 v13, s16, v13, v86
	flat_load_u8 v38, v[100:101] slc dlc
	v_add_co_ci_u32_e64 v37, s16, v37, v87, s16
	v_cmp_gt_i32_e32 vcc_lo, 1, v12
	s_or_b32 s18, vcc_lo, s18
	s_waitcnt vmcnt(0) lgkmcnt(0)
	flat_store_b8 v[100:101], v38 glc slc dlc
	s_and_not1_b32 exec_lo, exec_lo, s18
	s_cbranch_execnz .LBB12_259
.LBB12_260:                             ;   in Loop: Header=BB12_107 Depth=1
	s_or_b32 exec_lo, exec_lo, s17
.LBB12_261:                             ;   in Loop: Header=BB12_107 Depth=1
	v_cmp_lt_i32_e64 s16, 0, v1
.LBB12_262:                             ;   in Loop: Header=BB12_107 Depth=1
	s_and_saveexec_b32 s17, s3
	s_cbranch_execz .LBB12_284
; %bb.263:                              ;   in Loop: Header=BB12_107 Depth=1
	s_and_saveexec_b32 s18, s4
	s_delay_alu instid0(SALU_CYCLE_1)
	s_xor_b32 s18, exec_lo, s18
	s_cbranch_execz .LBB12_281
; %bb.264:                              ;   in Loop: Header=BB12_107 Depth=1
	s_and_saveexec_b32 s19, s5
	s_cbranch_execz .LBB12_280
; %bb.265:                              ;   in Loop: Header=BB12_107 Depth=1
	s_mov_b32 s31, exec_lo
	s_mov_b32 s30, exec_lo
	v_mbcnt_lo_u32_b32 v1, s31, 0
	s_waitcnt lgkmcnt(0)
	s_waitcnt_vscnt null, 0x0
	buffer_gl1_inv
	buffer_gl0_inv
	v_cmpx_eq_u32_e32 0, v1
	s_cbranch_execz .LBB12_267
; %bb.266:                              ;   in Loop: Header=BB12_107 Depth=1
	s_bcnt1_i32_b32 vcc_lo, s31
	s_delay_alu instid0(SALU_CYCLE_1)
	v_mov_b32_e32 v1, vcc_lo
	ds_add_u64 v0, v[1:2]
	s_cbranch_execnz .LBB12_1451
.LBB12_267:                             ;   in Loop: Header=BB12_107 Depth=1
	s_or_b32 exec_lo, exec_lo, s30
	s_cbranch_execnz .LBB12_1394
; %bb.268:                              ;   in Loop: Header=BB12_107 Depth=1
	ds_load_b64 v[10:11], v0
	v_add_co_u32 v26, vcc_lo, v26, v54
	v_add_co_ci_u32_e32 v27, vcc_lo, 0, v27, vcc_lo
	s_mov_b32 s30, exec_lo
	s_waitcnt lgkmcnt(0)
	s_delay_alu instid0(VALU_DEP_1)
	v_cmpx_lt_u64_e64 v[10:11], v[26:27]
	s_cbranch_execz .LBB12_279
; %bb.269:                              ;   in Loop: Header=BB12_107 Depth=1
	s_mov_b32 s31, 0
	s_mov_b32 s36, 0
                                        ; implicit-def: $sgpr34
                                        ; implicit-def: $sgpr35
	s_branch .LBB12_271
.LBB12_270:                             ;   in Loop: Header=BB12_271 Depth=2
	s_or_b32 exec_lo, exec_lo, s38
	s_delay_alu instid0(SALU_CYCLE_1) | instskip(NEXT) | instid1(SALU_CYCLE_1)
	s_and_b32 vcc_lo, exec_lo, vcc_lo
	s_or_b32 s31, vcc_lo, s31
	s_and_not1_b32 vcc_lo, s34, exec_lo
	s_and_b32 s34, s35, exec_lo
	s_delay_alu instid0(SALU_CYCLE_1)
	s_or_b32 s34, vcc_lo, s34
	s_and_not1_b32 exec_lo, exec_lo, s31
	s_cbranch_execz .LBB12_277
.LBB12_271:                             ;   Parent Loop BB12_107 Depth=1
                                        ; =>  This Inner Loop Header: Depth=2
	s_add_i32 s36, s36, 1
                                        ; implicit-def: $sgpr38
	s_delay_alu instid0(SALU_CYCLE_1) | instskip(SKIP_1) | instid1(SALU_CYCLE_1)
	s_cmpk_lg_i32 s36, 0x2710
	s_cselect_b32 s37, -1, 0
	s_and_b32 vcc_lo, exec_lo, s37
	s_cbranch_vccz .LBB12_275
.LBB12_272:                             ;   in Loop: Header=BB12_271 Depth=2
	s_and_not1_b32 s35, s35, exec_lo
	s_and_b32 s38, s38, exec_lo
	s_mov_b32 vcc_lo, -1
	s_or_b32 s35, s35, s38
	s_and_saveexec_b32 s38, s37
	s_cbranch_execz .LBB12_270
; %bb.273:                              ;   in Loop: Header=BB12_271 Depth=2
	s_sleep 1
	s_cbranch_execnz .LBB12_1497
; %bb.274:                              ;   in Loop: Header=BB12_271 Depth=2
	ds_load_b64 v[10:11], v0
	s_and_not1_b32 s35, s35, exec_lo
	s_waitcnt lgkmcnt(0)
	v_cmp_ge_u64_e32 vcc_lo, v[10:11], v[26:27]
	s_or_not1_b32 vcc_lo, vcc_lo, exec_lo
	s_branch .LBB12_270
.LBB12_275:                             ;   in Loop: Header=BB12_271 Depth=2
	s_cbranch_execnz .LBB12_1511
; %bb.276:                              ;   in Loop: Header=BB12_271 Depth=2
	ds_load_b64 v[10:11], v0
	s_and_not1_b32 s37, s37, exec_lo
	s_mov_b32 s36, 0
	s_mov_b32 s38, -1
	s_waitcnt lgkmcnt(0)
	flat_load_b32 v1, v[10:11] glc
	s_waitcnt vmcnt(0) lgkmcnt(0)
	buffer_gl1_inv
	buffer_gl0_inv
	v_cmp_eq_u32_e32 vcc_lo, 0, v1
	s_and_b32 vcc_lo, vcc_lo, exec_lo
	s_delay_alu instid0(SALU_CYCLE_1)
	s_or_b32 s37, s37, vcc_lo
	s_branch .LBB12_272
.LBB12_277:                             ;   in Loop: Header=BB12_107 Depth=1
	s_or_b32 exec_lo, exec_lo, s31
	s_and_saveexec_b32 vcc_lo, s34
	s_delay_alu instid0(SALU_CYCLE_1)
	s_xor_b32 vcc_lo, exec_lo, vcc_lo
	s_cbranch_execz .LBB12_279
; %bb.278:                              ;   in Loop: Header=BB12_107 Depth=1
	ds_store_b32 v0, v99
	s_cbranch_execnz .LBB12_1579
.LBB12_279:                             ;   in Loop: Header=BB12_107 Depth=1
	s_or_b32 exec_lo, exec_lo, s30
	;;#ASMSTART
	s_wakeup
	;;#ASMEND
.LBB12_280:                             ;   in Loop: Header=BB12_107 Depth=1
	s_or_b32 exec_lo, exec_lo, s19
.LBB12_281:                             ;   in Loop: Header=BB12_107 Depth=1
	s_and_not1_saveexec_b32 s18, s18
	s_cbranch_execz .LBB12_283
; %bb.282:                              ;   in Loop: Header=BB12_107 Depth=1
	s_waitcnt lgkmcnt(0)
	s_waitcnt_vscnt null, 0x0
	buffer_gl1_inv
	buffer_gl0_inv
	s_barrier
.LBB12_283:                             ;   in Loop: Header=BB12_107 Depth=1
	s_or_b32 exec_lo, exec_lo, s18
.LBB12_284:                             ;   in Loop: Header=BB12_107 Depth=1
	s_delay_alu instid0(SALU_CYCLE_1) | instskip(SKIP_1) | instid1(SALU_CYCLE_1)
	s_or_b32 exec_lo, exec_lo, s17
                                        ; implicit-def: $vgpr1
	s_and_saveexec_b32 s17, s11
	s_xor_b32 s17, exec_lo, s17
	s_cbranch_execz .LBB12_288
; %bb.285:                              ;   in Loop: Header=BB12_107 Depth=1
	v_and_b32_e32 v1, 16, v48
	s_delay_alu instid0(VALU_DEP_1) | instskip(SKIP_2) | instid1(SALU_CYCLE_1)
	v_cmp_ne_u32_e32 vcc_lo, 0, v1
	v_and_b32_e32 v1, 16, v48
	s_and_b32 s18, vcc_lo, s16
	s_and_saveexec_b32 s16, s18
	s_cbranch_execz .LBB12_287
; %bb.286:                              ;   in Loop: Header=BB12_107 Depth=1
	v_mov_b32_e32 v1, 1
	s_waitcnt lgkmcnt(0)
	s_waitcnt_vscnt null, 0x0
	buffer_gl1_inv
	buffer_gl0_inv
.LBB12_287:                             ;   in Loop: Header=BB12_107 Depth=1
	s_or_b32 exec_lo, exec_lo, s16
.LBB12_288:                             ;   in Loop: Header=BB12_107 Depth=1
	s_and_not1_saveexec_b32 s16, s17
	s_cbranch_execz .LBB12_310
; %bb.289:                              ;   in Loop: Header=BB12_107 Depth=1
	s_and_saveexec_b32 s17, s4
	s_delay_alu instid0(SALU_CYCLE_1)
	s_xor_b32 s17, exec_lo, s17
	s_cbranch_execz .LBB12_307
; %bb.290:                              ;   in Loop: Header=BB12_107 Depth=1
	s_and_saveexec_b32 s18, s5
	s_cbranch_execz .LBB12_306
; %bb.291:                              ;   in Loop: Header=BB12_107 Depth=1
	s_mov_b32 s30, exec_lo
	s_mov_b32 s19, exec_lo
	v_mbcnt_lo_u32_b32 v1, s30, 0
	;;#ASMSTART
	s_waitcnt lgkmcnt(0) vmcnt(0)
	;;#ASMEND
	s_delay_alu instid0(VALU_DEP_1)
	v_cmpx_eq_u32_e32 0, v1
	s_cbranch_execz .LBB12_293
; %bb.292:                              ;   in Loop: Header=BB12_107 Depth=1
	s_bcnt1_i32_b32 vcc_lo, s30
	s_delay_alu instid0(SALU_CYCLE_1)
	v_mov_b32_e32 v1, vcc_lo
	ds_add_u64 v0, v[1:2]
	s_cbranch_execnz .LBB12_1457
.LBB12_293:                             ;   in Loop: Header=BB12_107 Depth=1
	s_or_b32 exec_lo, exec_lo, s19
	s_cbranch_execnz .LBB12_1404
; %bb.294:                              ;   in Loop: Header=BB12_107 Depth=1
	ds_load_b64 v[10:11], v0
	v_add_co_u32 v26, vcc_lo, v26, v54
	v_add_co_ci_u32_e32 v27, vcc_lo, 0, v27, vcc_lo
	s_mov_b32 s19, exec_lo
	s_waitcnt lgkmcnt(0)
	s_delay_alu instid0(VALU_DEP_1)
	v_cmpx_lt_u64_e64 v[10:11], v[26:27]
	s_cbranch_execz .LBB12_305
; %bb.295:                              ;   in Loop: Header=BB12_107 Depth=1
	s_mov_b32 s30, 0
	s_mov_b32 s35, 0
                                        ; implicit-def: $sgpr31
                                        ; implicit-def: $sgpr34
	s_branch .LBB12_297
.LBB12_296:                             ;   in Loop: Header=BB12_297 Depth=2
	s_or_b32 exec_lo, exec_lo, s37
	s_delay_alu instid0(SALU_CYCLE_1) | instskip(NEXT) | instid1(SALU_CYCLE_1)
	s_and_b32 vcc_lo, exec_lo, vcc_lo
	s_or_b32 s30, vcc_lo, s30
	s_and_not1_b32 vcc_lo, s31, exec_lo
	s_and_b32 s31, s34, exec_lo
	s_delay_alu instid0(SALU_CYCLE_1)
	s_or_b32 s31, vcc_lo, s31
	s_and_not1_b32 exec_lo, exec_lo, s30
	s_cbranch_execz .LBB12_303
.LBB12_297:                             ;   Parent Loop BB12_107 Depth=1
                                        ; =>  This Inner Loop Header: Depth=2
	s_add_i32 s35, s35, 1
                                        ; implicit-def: $sgpr37
	s_delay_alu instid0(SALU_CYCLE_1) | instskip(SKIP_1) | instid1(SALU_CYCLE_1)
	s_cmpk_lg_i32 s35, 0x2710
	s_cselect_b32 s36, -1, 0
	s_and_b32 vcc_lo, exec_lo, s36
	s_cbranch_vccz .LBB12_301
.LBB12_298:                             ;   in Loop: Header=BB12_297 Depth=2
	s_and_not1_b32 s34, s34, exec_lo
	s_and_b32 s37, s37, exec_lo
	s_mov_b32 vcc_lo, -1
	s_or_b32 s34, s34, s37
	s_and_saveexec_b32 s37, s36
	s_cbranch_execz .LBB12_296
; %bb.299:                              ;   in Loop: Header=BB12_297 Depth=2
	s_sleep 1
	s_cbranch_execnz .LBB12_1503
; %bb.300:                              ;   in Loop: Header=BB12_297 Depth=2
	ds_load_b64 v[10:11], v0
	s_and_not1_b32 s34, s34, exec_lo
	s_waitcnt lgkmcnt(0)
	v_cmp_ge_u64_e32 vcc_lo, v[10:11], v[26:27]
	s_or_not1_b32 vcc_lo, vcc_lo, exec_lo
	s_branch .LBB12_296
.LBB12_301:                             ;   in Loop: Header=BB12_297 Depth=2
	s_cbranch_execnz .LBB12_1521
; %bb.302:                              ;   in Loop: Header=BB12_297 Depth=2
	ds_load_b64 v[10:11], v0
	s_and_not1_b32 s36, s36, exec_lo
	s_mov_b32 s35, 0
	s_mov_b32 s37, -1
	s_waitcnt lgkmcnt(0)
	s_waitcnt_vscnt null, 0x0
	flat_load_b32 v1, v[10:11] glc
	s_waitcnt vmcnt(0) lgkmcnt(0)
	buffer_gl1_inv
	buffer_gl0_inv
	v_cmp_eq_u32_e32 vcc_lo, 0, v1
	s_and_b32 vcc_lo, vcc_lo, exec_lo
	s_delay_alu instid0(SALU_CYCLE_1)
	s_or_b32 s36, s36, vcc_lo
	s_branch .LBB12_298
.LBB12_303:                             ;   in Loop: Header=BB12_107 Depth=1
	s_or_b32 exec_lo, exec_lo, s30
	s_and_saveexec_b32 vcc_lo, s31
	s_delay_alu instid0(SALU_CYCLE_1)
	s_xor_b32 vcc_lo, exec_lo, vcc_lo
	s_cbranch_execz .LBB12_305
; %bb.304:                              ;   in Loop: Header=BB12_107 Depth=1
	ds_store_b32 v0, v99
	s_cbranch_execnz .LBB12_1583
.LBB12_305:                             ;   in Loop: Header=BB12_107 Depth=1
	s_or_b32 exec_lo, exec_lo, s19
	;;#ASMSTART
	s_wakeup
	;;#ASMEND
.LBB12_306:                             ;   in Loop: Header=BB12_107 Depth=1
	s_or_b32 exec_lo, exec_lo, s18
.LBB12_307:                             ;   in Loop: Header=BB12_107 Depth=1
	s_and_not1_saveexec_b32 s17, s17
	s_cbranch_execz .LBB12_309
; %bb.308:                              ;   in Loop: Header=BB12_107 Depth=1
	;;#ASMSTART
	s_waitcnt lgkmcnt(0) vmcnt(0)
	;;#ASMEND
	s_waitcnt lgkmcnt(0)
	s_waitcnt_vscnt null, 0x0
	s_barrier
.LBB12_309:                             ;   in Loop: Header=BB12_107 Depth=1
	s_or_b32 exec_lo, exec_lo, s17
	v_and_b32_e32 v1, 16, v48
.LBB12_310:                             ;   in Loop: Header=BB12_107 Depth=1
	s_or_b32 exec_lo, exec_lo, s16
	s_delay_alu instid0(VALU_DEP_1) | instskip(SKIP_1) | instid1(SALU_CYCLE_1)
	v_cmp_ne_u32_e32 vcc_lo, 0, v1
	s_xor_b32 s16, s12, -1
	s_and_b32 s17, vcc_lo, s16
	s_delay_alu instid0(SALU_CYCLE_1)
	s_and_saveexec_b32 s16, s17
	s_cbranch_execz .LBB12_312
; %bb.311:                              ;   in Loop: Header=BB12_107 Depth=1
	s_waitcnt lgkmcnt(0)
	s_waitcnt_vscnt null, 0x0
	flat_store_b32 v[24:25], v99
.LBB12_312:                             ;   in Loop: Header=BB12_107 Depth=1
	s_or_b32 exec_lo, exec_lo, s16
	v_and_b32_e32 v1, 48, v48
	s_mov_b32 s16, exec_lo
	s_delay_alu instid0(VALU_DEP_1)
	v_cmpx_ne_u32_e32 0, v1
	s_cbranch_execz .LBB12_314
; %bb.313:                              ;   in Loop: Header=BB12_107 Depth=1
	v_add_co_u32 v8, vcc_lo, v8, 1
	v_add_co_ci_u32_e32 v9, vcc_lo, 0, v9, vcc_lo
	s_waitcnt lgkmcnt(0)
	s_waitcnt_vscnt null, 0x0
	flat_store_b64 v[20:21], v[8:9]
.LBB12_314:                             ;   in Loop: Header=BB12_107 Depth=1
	s_or_b32 exec_lo, exec_lo, s16
	v_mov_b32_e32 v12, v36
.LBB12_315:                             ;   in Loop: Header=BB12_107 Depth=1
	s_or_b32 exec_lo, exec_lo, vcc_hi
	s_mov_b32 s16, 0
	s_and_saveexec_b32 s17, s14
	s_cbranch_execz .LBB12_397
; %bb.316:                              ;   in Loop: Header=BB12_107 Depth=1
	v_and_b32_e32 v1, 12, v48
	s_mov_b32 s18, -1
	s_mov_b32 s16, exec_lo
	s_delay_alu instid0(VALU_DEP_1)
	v_cmpx_ne_u32_e32 0, v1
	s_cbranch_execz .LBB12_330
; %bb.317:                              ;   in Loop: Header=BB12_107 Depth=1
	v_and_b32_e32 v1, 8, v48
	v_mov_b32_e32 v13, 1
	s_mov_b32 s18, exec_lo
	s_delay_alu instid0(VALU_DEP_2) | instskip(SKIP_3) | instid1(VALU_DEP_1)
	v_add_co_u32 v37, vcc_lo, v28, v1
	v_add_co_ci_u32_e32 v38, vcc_lo, 0, v29, vcc_lo
	v_add_co_u32 v10, vcc_lo, v8, 1
	v_add_co_ci_u32_e32 v11, vcc_lo, 0, v9, vcc_lo
	v_cmpx_lt_u64_e64 v[37:38], v[10:11]
	s_cbranch_execz .LBB12_329
; %bb.318:                              ;   in Loop: Header=BB12_107 Depth=1
	v_mov_b32_e32 v13, 0
	s_mov_b32 s19, 0
                                        ; implicit-def: $vcc_hi
	s_branch .LBB12_322
.LBB12_319:                             ;   in Loop: Header=BB12_322 Depth=2
	s_or_b32 exec_lo, exec_lo, s35
	v_mov_b32_e32 v37, 0
	s_or_not1_b32 s34, s34, exec_lo
.LBB12_320:                             ;   in Loop: Header=BB12_322 Depth=2
	s_or_b32 exec_lo, exec_lo, s31
	s_delay_alu instid0(VALU_DEP_1) | instskip(SKIP_2) | instid1(SALU_CYCLE_1)
	v_mov_b32_e32 v13, v37
	s_and_not1_b32 vcc_lo, vcc_hi, exec_lo
	s_and_b32 vcc_hi, s34, exec_lo
	s_or_b32 vcc_hi, vcc_lo, vcc_hi
.LBB12_321:                             ;   in Loop: Header=BB12_322 Depth=2
	s_or_b32 exec_lo, exec_lo, s30
	s_waitcnt vmcnt(0) lgkmcnt(0)
	v_add_co_u32 v37, vcc_lo, v28, v1
	v_add_co_ci_u32_e32 v38, vcc_lo, 0, v29, vcc_lo
	s_delay_alu instid0(VALU_DEP_1) | instskip(SKIP_1) | instid1(SALU_CYCLE_1)
	v_cmp_ge_u64_e32 vcc_lo, v[37:38], v[10:11]
	s_xor_b32 s30, vcc_hi, -1
	s_or_b32 vcc_lo, s30, vcc_lo
	s_delay_alu instid0(SALU_CYCLE_1) | instskip(NEXT) | instid1(SALU_CYCLE_1)
	s_and_b32 vcc_lo, exec_lo, vcc_lo
	s_or_b32 s19, vcc_lo, s19
	s_delay_alu instid0(SALU_CYCLE_1)
	s_and_not1_b32 exec_lo, exec_lo, s19
	s_cbranch_execz .LBB12_328
.LBB12_322:                             ;   Parent Loop BB12_107 Depth=1
                                        ; =>  This Inner Loop Header: Depth=2
	s_sleep 1
	flat_load_b64 v[28:29], v[20:21] glc
	v_and_b32_e32 v37, 64, v48
	s_and_not1_b32 vcc_hi, vcc_hi, exec_lo
	s_mov_b32 s30, exec_lo
	s_delay_alu instid0(VALU_DEP_1)
	v_cmpx_eq_u32_e32 0, v37
	s_cbranch_execz .LBB12_321
; %bb.323:                              ;   in Loop: Header=BB12_322 Depth=2
	v_add_nc_u32_e32 v37, 1, v13
	s_mov_b32 s34, -1
	s_mov_b32 s31, exec_lo
	v_cmpx_lt_i32_e32 0x270e, v13
	s_cbranch_execz .LBB12_320
; %bb.324:                              ;   in Loop: Header=BB12_322 Depth=2
	s_cbranch_execnz .LBB12_1227
; %bb.325:                              ;   in Loop: Header=BB12_322 Depth=2
	ds_load_b64 v[37:38], v0
	s_mov_b32 s35, exec_lo
	s_waitcnt vmcnt(0) lgkmcnt(0)
	s_waitcnt_vscnt null, 0x0
	flat_load_b32 v13, v[37:38] glc
	s_waitcnt vmcnt(0) lgkmcnt(0)
	buffer_gl1_inv
	buffer_gl0_inv
	v_cmpx_ne_u32_e32 0, v13
	s_cbranch_execz .LBB12_319
; %bb.326:                              ;   in Loop: Header=BB12_322 Depth=2
	ds_store_b32 v0, v13
	s_cbranch_execnz .LBB12_1272
; %bb.327:                              ;   in Loop: Header=BB12_322 Depth=2
	v_or_b32_e32 v48, 64, v48
	s_xor_b32 s34, exec_lo, -1
	s_branch .LBB12_319
.LBB12_328:                             ;   in Loop: Header=BB12_107 Depth=1
	s_or_b32 exec_lo, exec_lo, s19
	v_and_b32_e32 v13, 12, v48
.LBB12_329:                             ;   in Loop: Header=BB12_107 Depth=1
	s_or_b32 exec_lo, exec_lo, s18
	s_delay_alu instid0(VALU_DEP_1)
	v_cmp_eq_u32_e32 vcc_lo, 0, v13
	;;#ASMSTART
	s_wakeup
	;;#ASMEND
	s_or_not1_b32 s18, vcc_lo, exec_lo
.LBB12_330:                             ;   in Loop: Header=BB12_107 Depth=1
	s_or_b32 exec_lo, exec_lo, s16
	v_sub_nc_u32_e32 v1, v39, v12
	s_xor_b32 s16, s18, -1
	s_delay_alu instid0(VALU_DEP_1)
	v_min_i32_e32 v10, v36, v1
	s_and_saveexec_b32 s18, s16
	s_cbranch_execz .LBB12_345
; %bb.331:                              ;   in Loop: Header=BB12_107 Depth=1
	v_and_b32_e32 v1, 0x108, v48
	s_mov_b32 s16, exec_lo
	s_delay_alu instid0(VALU_DEP_1)
	v_cmpx_ne_u32_e32 0x108, v1
	s_xor_b32 s16, exec_lo, s16
                                        ; implicit-def: $vgpr12_vgpr13
; %bb.332:                              ;   in Loop: Header=BB12_107 Depth=1
	v_and_b32_e32 v12, 7, v8
; %bb.333:                              ;   in Loop: Header=BB12_107 Depth=1
	s_and_not1_saveexec_b32 s16, s16
	s_cbranch_execz .LBB12_335
; %bb.334:                              ;   in Loop: Header=BB12_107 Depth=1
	v_and_b32_e32 v12, 7, v8
	v_ashrrev_i32_e32 v11, 31, v10
	s_delay_alu instid0(VALU_DEP_2)
	v_mad_u64_u32 v[36:37], null, v12, 24, v[6:7]
	flat_store_b64 v[36:37], v[10:11] offset:8
.LBB12_335:                             ;   in Loop: Header=BB12_107 Depth=1
	s_or_b32 exec_lo, exec_lo, s16
	v_and_b32_e32 v1, 0x100, v48
	s_mov_b32 s16, -1
	s_mov_b32 s19, exec_lo
                                        ; implicit-def: $vgpr36_vgpr37
	s_delay_alu instid0(VALU_DEP_1)
	v_cmpx_ne_u32_e32 0, v1
	s_cbranch_execnz .LBB12_338
; %bb.336:                              ;   in Loop: Header=BB12_107 Depth=1
	s_or_b32 exec_lo, exec_lo, s19
	s_and_saveexec_b32 s19, s16
	s_cbranch_execnz .LBB12_341
.LBB12_337:                             ;   in Loop: Header=BB12_107 Depth=1
	s_or_b32 exec_lo, exec_lo, s19
	s_cbranch_execnz .LBB12_1223
	s_branch .LBB12_342
.LBB12_338:                             ;   in Loop: Header=BB12_107 Depth=1
	v_mad_u64_u32 v[38:39], null, v12, 24, v[6:7]
	s_delay_alu instid0(VALU_DEP_1) | instskip(NEXT) | instid1(VALU_DEP_1)
	v_mov_b32_e32 v1, v39
	v_mad_u64_u32 v[36:37], null, v2, 24, v[1:2]
	s_delay_alu instid0(VALU_DEP_1)
	v_mov_b32_e32 v39, v36
                                        ; implicit-def: $vgpr36_vgpr37
	flat_load_b32 v1, v[38:39]
	s_waitcnt vmcnt(0) lgkmcnt(0)
	v_cmp_ne_u32_e32 vcc_lo, 1, v1
	s_mov_b32 vcc_hi, exec_lo
	v_cmpx_eq_u32_e32 1, v1
	s_cbranch_execz .LBB12_340
; %bb.339:                              ;   in Loop: Header=BB12_107 Depth=1
	flat_load_b32 v36, v[38:39] offset:4 glc
	s_waitcnt vmcnt(0) lgkmcnt(0)
	v_ashrrev_i32_e32 v37, 31, v36
.LBB12_340:                             ;   in Loop: Header=BB12_107 Depth=1
	s_or_b32 exec_lo, exec_lo, vcc_hi
	s_delay_alu instid0(SALU_CYCLE_1)
	s_or_not1_b32 s16, vcc_lo, exec_lo
	s_or_b32 exec_lo, exec_lo, s19
	s_and_saveexec_b32 s19, s16
	s_cbranch_execz .LBB12_337
.LBB12_341:                             ;   in Loop: Header=BB12_107 Depth=1
	v_mul_lo_u32 v1, v2, v49
	v_mul_lo_u32 v11, v12, v52
	v_mad_u64_u32 v[36:37], null, v12, v49, 0
	s_delay_alu instid0(VALU_DEP_1)
	v_add3_u32 v37, v37, v11, v1
	s_or_b32 exec_lo, exec_lo, s19
	s_cbranch_execnz .LBB12_1223
.LBB12_342:                             ;   in Loop: Header=BB12_107 Depth=1
	s_delay_alu instid0(VALU_DEP_2)
	v_add_co_u32 v11, vcc_lo, v22, v36
	v_and_b32_e32 v1, 0x2000, v48
	v_add_co_ci_u32_e32 v12, vcc_lo, v23, v37, vcc_lo
	s_mov_b32 s16, exec_lo
	ds_store_b64 v0, v[11:12]
	v_cmpx_ne_u32_e32 0, v1
	s_cbranch_execz .LBB12_344
; %bb.343:                              ;   in Loop: Header=BB12_107 Depth=1
	ds_load_b64 v[11:12], v0 offset:584
	s_waitcnt lgkmcnt(0)
	v_add_co_u32 v11, vcc_lo, v11, 1
	v_add_co_ci_u32_e32 v12, vcc_lo, 0, v12, vcc_lo
	ds_store_b64 v0, v[11:12] offset:584
.LBB12_344:                             ;   in Loop: Header=BB12_107 Depth=1
	s_or_b32 exec_lo, exec_lo, s16
	v_add_co_u32 v8, vcc_lo, v8, 1
	v_add_co_ci_u32_e32 v9, vcc_lo, 0, v9, vcc_lo
.LBB12_345:                             ;   in Loop: Header=BB12_107 Depth=1
	s_or_b32 exec_lo, exec_lo, s18
	s_and_saveexec_b32 s16, s3
	s_cbranch_execz .LBB12_367
; %bb.346:                              ;   in Loop: Header=BB12_107 Depth=1
	s_and_saveexec_b32 s18, s4
	s_delay_alu instid0(SALU_CYCLE_1)
	s_xor_b32 s18, exec_lo, s18
	s_cbranch_execz .LBB12_364
; %bb.347:                              ;   in Loop: Header=BB12_107 Depth=1
	s_and_saveexec_b32 s19, s5
	s_cbranch_execz .LBB12_363
; %bb.348:                              ;   in Loop: Header=BB12_107 Depth=1
	s_mov_b32 s30, exec_lo
	s_mov_b32 vcc_hi, exec_lo
	v_mbcnt_lo_u32_b32 v1, s30, 0
	s_waitcnt lgkmcnt(0)
	s_waitcnt_vscnt null, 0x0
	buffer_gl1_inv
	buffer_gl0_inv
	v_cmpx_eq_u32_e32 0, v1
	s_cbranch_execz .LBB12_350
; %bb.349:                              ;   in Loop: Header=BB12_107 Depth=1
	s_bcnt1_i32_b32 vcc_lo, s30
	s_delay_alu instid0(SALU_CYCLE_1)
	v_mov_b32_e32 v1, vcc_lo
	ds_add_u64 v0, v[1:2]
	s_cbranch_execnz .LBB12_1316
.LBB12_350:                             ;   in Loop: Header=BB12_107 Depth=1
	s_or_b32 exec_lo, exec_lo, vcc_hi
	s_cbranch_execnz .LBB12_1294
; %bb.351:                              ;   in Loop: Header=BB12_107 Depth=1
	ds_load_b64 v[11:12], v0
	v_add_co_u32 v26, vcc_lo, v26, v54
	v_add_co_ci_u32_e32 v27, vcc_lo, 0, v27, vcc_lo
	s_mov_b32 vcc_hi, exec_lo
	s_waitcnt lgkmcnt(0)
	s_delay_alu instid0(VALU_DEP_1)
	v_cmpx_lt_u64_e64 v[11:12], v[26:27]
	s_cbranch_execz .LBB12_362
; %bb.352:                              ;   in Loop: Header=BB12_107 Depth=1
	s_mov_b32 s30, 0
	s_mov_b32 s35, 0
                                        ; implicit-def: $sgpr31
                                        ; implicit-def: $sgpr34
	s_branch .LBB12_354
.LBB12_353:                             ;   in Loop: Header=BB12_354 Depth=2
	s_or_b32 exec_lo, exec_lo, s37
	s_delay_alu instid0(SALU_CYCLE_1) | instskip(NEXT) | instid1(SALU_CYCLE_1)
	s_and_b32 vcc_lo, exec_lo, vcc_lo
	s_or_b32 s30, vcc_lo, s30
	s_and_not1_b32 vcc_lo, s31, exec_lo
	s_and_b32 s31, s34, exec_lo
	s_delay_alu instid0(SALU_CYCLE_1)
	s_or_b32 s31, vcc_lo, s31
	s_and_not1_b32 exec_lo, exec_lo, s30
	s_cbranch_execz .LBB12_360
.LBB12_354:                             ;   Parent Loop BB12_107 Depth=1
                                        ; =>  This Inner Loop Header: Depth=2
	s_add_i32 s35, s35, 1
                                        ; implicit-def: $sgpr37
	s_delay_alu instid0(SALU_CYCLE_1) | instskip(SKIP_1) | instid1(SALU_CYCLE_1)
	s_cmpk_lg_i32 s35, 0x2710
	s_cselect_b32 s36, -1, 0
	s_and_b32 vcc_lo, exec_lo, s36
	s_cbranch_vccz .LBB12_358
.LBB12_355:                             ;   in Loop: Header=BB12_354 Depth=2
	s_and_not1_b32 s34, s34, exec_lo
	s_and_b32 s37, s37, exec_lo
	s_mov_b32 vcc_lo, -1
	s_or_b32 s34, s34, s37
	s_and_saveexec_b32 s37, s36
	s_cbranch_execz .LBB12_353
; %bb.356:                              ;   in Loop: Header=BB12_354 Depth=2
	s_sleep 1
	s_cbranch_execnz .LBB12_1368
; %bb.357:                              ;   in Loop: Header=BB12_354 Depth=2
	ds_load_b64 v[11:12], v0
	s_and_not1_b32 s34, s34, exec_lo
	s_waitcnt lgkmcnt(0)
	v_cmp_ge_u64_e32 vcc_lo, v[11:12], v[26:27]
	s_or_not1_b32 vcc_lo, vcc_lo, exec_lo
	s_branch .LBB12_353
.LBB12_358:                             ;   in Loop: Header=BB12_354 Depth=2
	s_cbranch_execnz .LBB12_1382
; %bb.359:                              ;   in Loop: Header=BB12_354 Depth=2
	ds_load_b64 v[11:12], v0
	s_and_not1_b32 s36, s36, exec_lo
	s_mov_b32 s35, 0
	s_mov_b32 s37, -1
	s_waitcnt lgkmcnt(0)
	flat_load_b32 v1, v[11:12] glc
	s_waitcnt vmcnt(0) lgkmcnt(0)
	buffer_gl1_inv
	buffer_gl0_inv
	v_cmp_eq_u32_e32 vcc_lo, 0, v1
	s_and_b32 vcc_lo, vcc_lo, exec_lo
	s_delay_alu instid0(SALU_CYCLE_1)
	s_or_b32 s36, s36, vcc_lo
	s_branch .LBB12_355
.LBB12_360:                             ;   in Loop: Header=BB12_107 Depth=1
	s_or_b32 exec_lo, exec_lo, s30
	s_and_saveexec_b32 vcc_lo, s31
	s_delay_alu instid0(SALU_CYCLE_1)
	s_xor_b32 vcc_lo, exec_lo, vcc_lo
	s_cbranch_execz .LBB12_362
; %bb.361:                              ;   in Loop: Header=BB12_107 Depth=1
	ds_store_b32 v0, v99
	s_cbranch_execnz .LBB12_1549
.LBB12_362:                             ;   in Loop: Header=BB12_107 Depth=1
	s_or_b32 exec_lo, exec_lo, vcc_hi
	;;#ASMSTART
	s_wakeup
	;;#ASMEND
.LBB12_363:                             ;   in Loop: Header=BB12_107 Depth=1
	s_or_b32 exec_lo, exec_lo, s19
.LBB12_364:                             ;   in Loop: Header=BB12_107 Depth=1
	s_and_not1_saveexec_b32 s18, s18
	s_cbranch_execz .LBB12_366
; %bb.365:                              ;   in Loop: Header=BB12_107 Depth=1
	s_waitcnt lgkmcnt(0)
	s_waitcnt_vscnt null, 0x0
	buffer_gl1_inv
	buffer_gl0_inv
	s_barrier
.LBB12_366:                             ;   in Loop: Header=BB12_107 Depth=1
	s_or_b32 exec_lo, exec_lo, s18
.LBB12_367:                             ;   in Loop: Header=BB12_107 Depth=1
	s_delay_alu instid0(SALU_CYCLE_1) | instskip(SKIP_1) | instid1(SALU_CYCLE_1)
	s_or_b32 exec_lo, exec_lo, s16
                                        ; implicit-def: $vgpr1
	s_and_saveexec_b32 s16, s11
	s_xor_b32 s18, exec_lo, s16
	s_cbranch_execz .LBB12_372
; %bb.368:                              ;   in Loop: Header=BB12_107 Depth=1
	s_cbranch_execnz .LBB12_1239
; %bb.369:                              ;   in Loop: Header=BB12_107 Depth=1
	ds_load_b32 v1, v0
	v_cmp_lt_i32_e32 vcc_lo, 0, v10
	s_waitcnt lgkmcnt(0)
	v_readfirstlane_b32 s16, v1
	v_and_b32_e32 v1, 16, v48
	s_delay_alu instid0(VALU_DEP_2) | instskip(NEXT) | instid1(VALU_DEP_1)
	s_cmp_eq_u32 s16, 0
	v_cmp_ne_u32_e64 s16, 0, v1
	s_cselect_b32 s19, -1, 0
	v_and_b32_e32 v1, 16, v48
	s_and_b32 s19, vcc_lo, s19
	s_delay_alu instid0(VALU_DEP_2) | instid1(SALU_CYCLE_1)
	s_and_b32 s19, s16, s19
	s_delay_alu instid0(SALU_CYCLE_1)
	s_and_saveexec_b32 s16, s19
	s_cbranch_execz .LBB12_371
; %bb.370:                              ;   in Loop: Header=BB12_107 Depth=1
	v_mov_b32_e32 v1, 1
	s_waitcnt_vscnt null, 0x0
	buffer_gl1_inv
	buffer_gl0_inv
.LBB12_371:                             ;   in Loop: Header=BB12_107 Depth=1
	s_or_b32 exec_lo, exec_lo, s16
.LBB12_372:                             ;   in Loop: Header=BB12_107 Depth=1
	s_and_not1_saveexec_b32 s16, s18
	s_cbranch_execz .LBB12_394
; %bb.373:                              ;   in Loop: Header=BB12_107 Depth=1
	s_and_saveexec_b32 s18, s4
	s_delay_alu instid0(SALU_CYCLE_1)
	s_xor_b32 s18, exec_lo, s18
	s_cbranch_execz .LBB12_391
; %bb.374:                              ;   in Loop: Header=BB12_107 Depth=1
	s_and_saveexec_b32 s19, s5
	s_cbranch_execz .LBB12_390
; %bb.375:                              ;   in Loop: Header=BB12_107 Depth=1
	s_mov_b32 s30, exec_lo
	s_mov_b32 vcc_hi, exec_lo
	v_mbcnt_lo_u32_b32 v1, s30, 0
	;;#ASMSTART
	s_waitcnt lgkmcnt(0) vmcnt(0)
	;;#ASMEND
	s_delay_alu instid0(VALU_DEP_1)
	v_cmpx_eq_u32_e32 0, v1
	s_cbranch_execz .LBB12_377
; %bb.376:                              ;   in Loop: Header=BB12_107 Depth=1
	s_bcnt1_i32_b32 vcc_lo, s30
	s_delay_alu instid0(SALU_CYCLE_1)
	v_mov_b32_e32 v1, vcc_lo
	ds_add_u64 v0, v[1:2]
	s_cbranch_execnz .LBB12_1336
.LBB12_377:                             ;   in Loop: Header=BB12_107 Depth=1
	s_or_b32 exec_lo, exec_lo, vcc_hi
	s_cbranch_execnz .LBB12_1312
; %bb.378:                              ;   in Loop: Header=BB12_107 Depth=1
	ds_load_b64 v[10:11], v0
	v_add_co_u32 v26, vcc_lo, v26, v54
	v_add_co_ci_u32_e32 v27, vcc_lo, 0, v27, vcc_lo
	s_mov_b32 vcc_hi, exec_lo
	s_waitcnt lgkmcnt(0)
	s_delay_alu instid0(VALU_DEP_1)
	v_cmpx_lt_u64_e64 v[10:11], v[26:27]
	s_cbranch_execz .LBB12_389
; %bb.379:                              ;   in Loop: Header=BB12_107 Depth=1
	s_mov_b32 s30, 0
	s_mov_b32 s35, 0
                                        ; implicit-def: $sgpr31
                                        ; implicit-def: $sgpr34
	s_branch .LBB12_381
.LBB12_380:                             ;   in Loop: Header=BB12_381 Depth=2
	s_or_b32 exec_lo, exec_lo, s37
	s_delay_alu instid0(SALU_CYCLE_1) | instskip(NEXT) | instid1(SALU_CYCLE_1)
	s_and_b32 vcc_lo, exec_lo, vcc_lo
	s_or_b32 s30, vcc_lo, s30
	s_and_not1_b32 vcc_lo, s31, exec_lo
	s_and_b32 s31, s34, exec_lo
	s_delay_alu instid0(SALU_CYCLE_1)
	s_or_b32 s31, vcc_lo, s31
	s_and_not1_b32 exec_lo, exec_lo, s30
	s_cbranch_execz .LBB12_387
.LBB12_381:                             ;   Parent Loop BB12_107 Depth=1
                                        ; =>  This Inner Loop Header: Depth=2
	s_add_i32 s35, s35, 1
                                        ; implicit-def: $sgpr37
	s_delay_alu instid0(SALU_CYCLE_1) | instskip(SKIP_1) | instid1(SALU_CYCLE_1)
	s_cmpk_lg_i32 s35, 0x2710
	s_cselect_b32 s36, -1, 0
	s_and_b32 vcc_lo, exec_lo, s36
	s_cbranch_vccz .LBB12_385
.LBB12_382:                             ;   in Loop: Header=BB12_381 Depth=2
	s_and_not1_b32 s34, s34, exec_lo
	s_and_b32 s37, s37, exec_lo
	s_mov_b32 vcc_lo, -1
	s_or_b32 s34, s34, s37
	s_and_saveexec_b32 s37, s36
	s_cbranch_execz .LBB12_380
; %bb.383:                              ;   in Loop: Header=BB12_381 Depth=2
	s_sleep 1
	s_cbranch_execnz .LBB12_1400
; %bb.384:                              ;   in Loop: Header=BB12_381 Depth=2
	ds_load_b64 v[10:11], v0
	s_and_not1_b32 s34, s34, exec_lo
	s_waitcnt lgkmcnt(0)
	v_cmp_ge_u64_e32 vcc_lo, v[10:11], v[26:27]
	s_or_not1_b32 vcc_lo, vcc_lo, exec_lo
	s_branch .LBB12_380
.LBB12_385:                             ;   in Loop: Header=BB12_381 Depth=2
	s_cbranch_execnz .LBB12_1437
; %bb.386:                              ;   in Loop: Header=BB12_381 Depth=2
	ds_load_b64 v[10:11], v0
	s_and_not1_b32 s36, s36, exec_lo
	s_mov_b32 s35, 0
	s_mov_b32 s37, -1
	s_waitcnt lgkmcnt(0)
	s_waitcnt_vscnt null, 0x0
	flat_load_b32 v1, v[10:11] glc
	s_waitcnt vmcnt(0) lgkmcnt(0)
	buffer_gl1_inv
	buffer_gl0_inv
	v_cmp_eq_u32_e32 vcc_lo, 0, v1
	s_and_b32 vcc_lo, vcc_lo, exec_lo
	s_delay_alu instid0(SALU_CYCLE_1)
	s_or_b32 s36, s36, vcc_lo
	s_branch .LBB12_382
.LBB12_387:                             ;   in Loop: Header=BB12_107 Depth=1
	s_or_b32 exec_lo, exec_lo, s30
	s_and_saveexec_b32 vcc_lo, s31
	s_delay_alu instid0(SALU_CYCLE_1)
	s_xor_b32 vcc_lo, exec_lo, vcc_lo
	s_cbranch_execz .LBB12_389
; %bb.388:                              ;   in Loop: Header=BB12_107 Depth=1
	ds_store_b32 v0, v99
	s_cbranch_execnz .LBB12_1559
.LBB12_389:                             ;   in Loop: Header=BB12_107 Depth=1
	s_or_b32 exec_lo, exec_lo, vcc_hi
	;;#ASMSTART
	s_wakeup
	;;#ASMEND
.LBB12_390:                             ;   in Loop: Header=BB12_107 Depth=1
	s_or_b32 exec_lo, exec_lo, s19
.LBB12_391:                             ;   in Loop: Header=BB12_107 Depth=1
	s_and_not1_saveexec_b32 s18, s18
	s_cbranch_execz .LBB12_393
; %bb.392:                              ;   in Loop: Header=BB12_107 Depth=1
	;;#ASMSTART
	s_waitcnt lgkmcnt(0) vmcnt(0)
	;;#ASMEND
	s_waitcnt lgkmcnt(0)
	s_waitcnt_vscnt null, 0x0
	s_barrier
.LBB12_393:                             ;   in Loop: Header=BB12_107 Depth=1
	s_or_b32 exec_lo, exec_lo, s18
	v_and_b32_e32 v1, 16, v48
.LBB12_394:                             ;   in Loop: Header=BB12_107 Depth=1
	s_or_b32 exec_lo, exec_lo, s16
	s_delay_alu instid0(VALU_DEP_1) | instskip(SKIP_1) | instid1(SALU_CYCLE_1)
	v_cmp_ne_u32_e32 vcc_lo, 0, v1
	s_xor_b32 s16, s12, -1
	s_and_b32 s18, vcc_lo, s16
	s_delay_alu instid0(SALU_CYCLE_1)
	s_and_saveexec_b32 s16, s18
	s_cbranch_execz .LBB12_396
; %bb.395:                              ;   in Loop: Header=BB12_107 Depth=1
	s_waitcnt lgkmcnt(0)
	s_waitcnt_vscnt null, 0x0
	flat_store_b32 v[24:25], v99
.LBB12_396:                             ;   in Loop: Header=BB12_107 Depth=1
	s_or_b32 exec_lo, exec_lo, s16
	v_and_b32_e32 v1, 48, v48
	s_delay_alu instid0(VALU_DEP_1)
	v_cmp_ne_u32_e32 vcc_lo, 0, v1
	s_and_b32 s16, vcc_lo, exec_lo
.LBB12_397:                             ;   in Loop: Header=BB12_107 Depth=1
	s_or_b32 exec_lo, exec_lo, s17
	s_delay_alu instid0(SALU_CYCLE_1)
	s_and_b32 s18, s16, exec_lo
                                        ; implicit-def: $vgpr36
                                        ; implicit-def: $vgpr39
                                        ; implicit-def: $vgpr1
                                        ; implicit-def: $vgpr10
.LBB12_398:                             ;   in Loop: Header=BB12_107 Depth=1
	s_and_not1_saveexec_b32 s19, s28
	s_cbranch_execz .LBB12_633
; %bb.399:                              ;   in Loop: Header=BB12_107 Depth=1
	v_mov_b32_e32 v37, 0
	s_and_saveexec_b32 s28, s15
	s_cbranch_execz .LBB12_557
; %bb.400:                              ;   in Loop: Header=BB12_107 Depth=1
	s_and_saveexec_b32 s17, s0
	s_cbranch_execz .LBB12_403
; %bb.401:                              ;   in Loop: Header=BB12_107 Depth=1
	s_cbranch_execnz .LBB12_1177
; %bb.402:                              ;   in Loop: Header=BB12_107 Depth=1
	ds_load_b128 v[100:103], v0
	s_waitcnt lgkmcnt(0)
	v_add_co_u32 v13, vcc_lo, v102, v1
	v_add_co_ci_u32_e32 v37, vcc_lo, v103, v10, vcc_lo
	v_cmp_ne_u64_e32 vcc_lo, 0, v[102:103]
	v_add_co_u32 v11, s16, v100, v1
	s_delay_alu instid0(VALU_DEP_1) | instskip(NEXT) | instid1(VALU_DEP_4)
	v_add_co_ci_u32_e64 v12, s16, v101, v10, s16
	v_cndmask_b32_e32 v38, 0, v37, vcc_lo
	v_cndmask_b32_e32 v37, 0, v13, vcc_lo
	ds_store_b64 v0, v[11:12]
	ds_store_b64 v0, v[37:38]
.LBB12_403:                             ;   in Loop: Header=BB12_107 Depth=1
	s_or_b32 exec_lo, exec_lo, s17
	v_and_b32_e32 v1, 4, v48
	s_mov_b32 s17, -1
	s_mov_b32 s16, exec_lo
	s_delay_alu instid0(VALU_DEP_1)
	v_cmpx_ne_u32_e32 0, v1
	s_cbranch_execz .LBB12_417
; %bb.404:                              ;   in Loop: Header=BB12_107 Depth=1
	v_add_co_u32 v10, vcc_lo, v8, 1
	v_add_co_ci_u32_e32 v11, vcc_lo, 0, v9, vcc_lo
	v_mov_b32_e32 v1, 1
	s_mov_b32 s17, exec_lo
	s_delay_alu instid0(VALU_DEP_2)
	v_cmpx_lt_u64_e64 v[28:29], v[10:11]
	s_cbranch_execz .LBB12_416
; %bb.405:                              ;   in Loop: Header=BB12_107 Depth=1
	v_mov_b32_e32 v1, 0
	s_mov_b32 vcc_hi, 0
                                        ; implicit-def: $sgpr30
	s_branch .LBB12_409
.LBB12_406:                             ;   in Loop: Header=BB12_409 Depth=2
	s_or_b32 exec_lo, exec_lo, s36
	v_mov_b32_e32 v12, 0
	s_or_not1_b32 s35, s35, exec_lo
.LBB12_407:                             ;   in Loop: Header=BB12_409 Depth=2
	s_or_b32 exec_lo, exec_lo, s34
	s_delay_alu instid0(VALU_DEP_1) | instskip(SKIP_2) | instid1(SALU_CYCLE_1)
	v_mov_b32_e32 v1, v12
	s_and_not1_b32 vcc_lo, s30, exec_lo
	s_and_b32 s30, s35, exec_lo
	s_or_b32 s30, vcc_lo, s30
.LBB12_408:                             ;   in Loop: Header=BB12_409 Depth=2
	s_or_b32 exec_lo, exec_lo, s31
	s_waitcnt vmcnt(0) lgkmcnt(0)
	v_cmp_ge_u64_e32 vcc_lo, v[28:29], v[10:11]
	s_xor_b32 s31, s30, -1
	s_delay_alu instid0(SALU_CYCLE_1) | instskip(NEXT) | instid1(SALU_CYCLE_1)
	s_or_b32 vcc_lo, s31, vcc_lo
	s_and_b32 vcc_lo, exec_lo, vcc_lo
	s_delay_alu instid0(SALU_CYCLE_1) | instskip(NEXT) | instid1(SALU_CYCLE_1)
	s_or_b32 vcc_hi, vcc_lo, vcc_hi
	s_and_not1_b32 exec_lo, exec_lo, vcc_hi
	s_cbranch_execz .LBB12_415
.LBB12_409:                             ;   Parent Loop BB12_107 Depth=1
                                        ; =>  This Inner Loop Header: Depth=2
	s_sleep 1
	flat_load_b64 v[28:29], v[20:21] glc
	v_and_b32_e32 v12, 64, v48
	s_and_not1_b32 s30, s30, exec_lo
	s_mov_b32 s31, exec_lo
	s_delay_alu instid0(VALU_DEP_1)
	v_cmpx_eq_u32_e32 0, v12
	s_cbranch_execz .LBB12_408
; %bb.410:                              ;   in Loop: Header=BB12_409 Depth=2
	v_add_nc_u32_e32 v12, 1, v1
	s_mov_b32 s35, -1
	s_mov_b32 s34, exec_lo
	v_cmpx_lt_i32_e32 0x270e, v1
	s_cbranch_execz .LBB12_407
; %bb.411:                              ;   in Loop: Header=BB12_409 Depth=2
	s_cbranch_execnz .LBB12_1233
; %bb.412:                              ;   in Loop: Header=BB12_409 Depth=2
	ds_load_b64 v[12:13], v0
	s_mov_b32 s36, exec_lo
	s_waitcnt vmcnt(0) lgkmcnt(0)
	s_waitcnt_vscnt null, 0x0
	flat_load_b32 v1, v[12:13] glc
	s_waitcnt vmcnt(0) lgkmcnt(0)
	buffer_gl1_inv
	buffer_gl0_inv
	v_cmpx_ne_u32_e32 0, v1
	s_cbranch_execz .LBB12_406
; %bb.413:                              ;   in Loop: Header=BB12_409 Depth=2
	ds_store_b32 v0, v1
	s_cbranch_execnz .LBB12_1278
; %bb.414:                              ;   in Loop: Header=BB12_409 Depth=2
	v_or_b32_e32 v48, 64, v48
	s_xor_b32 s35, exec_lo, -1
	s_branch .LBB12_406
.LBB12_415:                             ;   in Loop: Header=BB12_107 Depth=1
	s_or_b32 exec_lo, exec_lo, vcc_hi
	v_and_b32_e32 v1, 4, v48
.LBB12_416:                             ;   in Loop: Header=BB12_107 Depth=1
	s_or_b32 exec_lo, exec_lo, s17
	s_delay_alu instid0(VALU_DEP_1)
	v_cmp_eq_u32_e32 vcc_lo, 0, v1
	;;#ASMSTART
	s_wakeup
	;;#ASMEND
	s_or_not1_b32 s17, vcc_lo, exec_lo
.LBB12_417:                             ;   in Loop: Header=BB12_107 Depth=1
	s_or_b32 exec_lo, exec_lo, s16
	s_xor_b32 s16, s17, -1
	s_delay_alu instid0(SALU_CYCLE_1)
	s_and_saveexec_b32 s17, s16
	s_cbranch_execz .LBB12_427
; %bb.418:                              ;   in Loop: Header=BB12_107 Depth=1
	v_and_b32_e32 v1, 0x100, v48
	s_mov_b32 s16, -1
                                        ; implicit-def: $vgpr10_vgpr11
	s_delay_alu instid0(VALU_DEP_1)
	v_cmp_ne_u32_e32 vcc_lo, 0, v1
	v_and_b32_e32 v1, 7, v8
	s_and_saveexec_b32 vcc_hi, vcc_lo
	s_cbranch_execz .LBB12_422
; %bb.419:                              ;   in Loop: Header=BB12_107 Depth=1
	s_delay_alu instid0(VALU_DEP_1) | instskip(SKIP_4) | instid1(VALU_DEP_1)
	v_mad_u64_u32 v[12:13], null, v1, 24, v[6:7]
	flat_load_b32 v10, v[12:13]
	s_waitcnt vmcnt(0) lgkmcnt(0)
	v_cmp_ne_u32_e32 vcc_lo, 1, v10
	v_cmp_eq_u32_e64 s16, 1, v10
                                        ; implicit-def: $vgpr10_vgpr11
	s_and_saveexec_b32 s30, s16
	s_cbranch_execz .LBB12_421
; %bb.420:                              ;   in Loop: Header=BB12_107 Depth=1
	flat_load_b32 v10, v[12:13] offset:4 glc
	s_waitcnt vmcnt(0) lgkmcnt(0)
	v_ashrrev_i32_e32 v11, 31, v10
.LBB12_421:                             ;   in Loop: Header=BB12_107 Depth=1
	s_or_b32 exec_lo, exec_lo, s30
	s_delay_alu instid0(SALU_CYCLE_1)
	s_or_not1_b32 s16, vcc_lo, exec_lo
.LBB12_422:                             ;   in Loop: Header=BB12_107 Depth=1
	s_or_b32 exec_lo, exec_lo, vcc_hi
	s_and_saveexec_b32 vcc_lo, s16
; %bb.423:                              ;   in Loop: Header=BB12_107 Depth=1
	v_mad_i64_i32 v[10:11], null, v1, v49, 0
; %bb.424:                              ;   in Loop: Header=BB12_107 Depth=1
	s_or_b32 exec_lo, exec_lo, vcc_lo
	s_delay_alu instid0(VALU_DEP_1) | instskip(SKIP_1) | instid1(VALU_DEP_3)
	v_add_co_u32 v10, vcc_lo, v22, v10
	v_and_b32_e32 v1, 0x2000, v48
	v_add_co_ci_u32_e32 v11, vcc_lo, v23, v11, vcc_lo
	s_mov_b32 s16, exec_lo
	ds_store_b64 v0, v[10:11] offset:720
	v_cmpx_ne_u32_e32 0, v1
	s_cbranch_execz .LBB12_426
; %bb.425:                              ;   in Loop: Header=BB12_107 Depth=1
	ds_load_b64 v[10:11], v0 offset:584
	s_waitcnt lgkmcnt(0)
	v_add_co_u32 v10, vcc_lo, v10, 1
	v_add_co_ci_u32_e32 v11, vcc_lo, 0, v11, vcc_lo
	ds_store_b64 v0, v[10:11] offset:584
.LBB12_426:                             ;   in Loop: Header=BB12_107 Depth=1
	s_or_b32 exec_lo, exec_lo, s16
	v_add_co_u32 v8, vcc_lo, v8, 1
	v_add_co_ci_u32_e32 v9, vcc_lo, 0, v9, vcc_lo
.LBB12_427:                             ;   in Loop: Header=BB12_107 Depth=1
	s_or_b32 exec_lo, exec_lo, s17
	s_and_saveexec_b32 s16, s3
	s_cbranch_execz .LBB12_449
; %bb.428:                              ;   in Loop: Header=BB12_107 Depth=1
	s_and_saveexec_b32 s17, s4
	s_delay_alu instid0(SALU_CYCLE_1)
	s_xor_b32 s17, exec_lo, s17
	s_cbranch_execz .LBB12_446
; %bb.429:                              ;   in Loop: Header=BB12_107 Depth=1
	s_and_saveexec_b32 vcc_hi, s5
	s_cbranch_execz .LBB12_445
; %bb.430:                              ;   in Loop: Header=BB12_107 Depth=1
	s_mov_b32 s31, exec_lo
	s_mov_b32 s30, exec_lo
	v_mbcnt_lo_u32_b32 v1, s31, 0
	s_waitcnt lgkmcnt(0)
	s_waitcnt_vscnt null, 0x0
	buffer_gl1_inv
	buffer_gl0_inv
	v_cmpx_eq_u32_e32 0, v1
	s_cbranch_execz .LBB12_432
; %bb.431:                              ;   in Loop: Header=BB12_107 Depth=1
	s_bcnt1_i32_b32 vcc_lo, s31
	s_delay_alu instid0(SALU_CYCLE_1)
	v_mov_b32_e32 v1, vcc_lo
	ds_add_u64 v0, v[1:2]
	s_cbranch_execnz .LBB12_1306
.LBB12_432:                             ;   in Loop: Header=BB12_107 Depth=1
	s_or_b32 exec_lo, exec_lo, s30
	s_cbranch_execnz .LBB12_1284
; %bb.433:                              ;   in Loop: Header=BB12_107 Depth=1
	ds_load_b64 v[10:11], v0
	v_add_co_u32 v26, vcc_lo, v26, v54
	v_add_co_ci_u32_e32 v27, vcc_lo, 0, v27, vcc_lo
	s_mov_b32 s30, exec_lo
	s_waitcnt lgkmcnt(0)
	s_delay_alu instid0(VALU_DEP_1)
	v_cmpx_lt_u64_e64 v[10:11], v[26:27]
	s_cbranch_execz .LBB12_444
; %bb.434:                              ;   in Loop: Header=BB12_107 Depth=1
	s_mov_b32 s31, 0
	s_mov_b32 s36, 0
                                        ; implicit-def: $sgpr34
                                        ; implicit-def: $sgpr35
	s_branch .LBB12_436
.LBB12_435:                             ;   in Loop: Header=BB12_436 Depth=2
	s_or_b32 exec_lo, exec_lo, s38
	s_delay_alu instid0(SALU_CYCLE_1) | instskip(NEXT) | instid1(SALU_CYCLE_1)
	s_and_b32 vcc_lo, exec_lo, vcc_lo
	s_or_b32 s31, vcc_lo, s31
	s_and_not1_b32 vcc_lo, s34, exec_lo
	s_and_b32 s34, s35, exec_lo
	s_delay_alu instid0(SALU_CYCLE_1)
	s_or_b32 s34, vcc_lo, s34
	s_and_not1_b32 exec_lo, exec_lo, s31
	s_cbranch_execz .LBB12_442
.LBB12_436:                             ;   Parent Loop BB12_107 Depth=1
                                        ; =>  This Inner Loop Header: Depth=2
	s_add_i32 s36, s36, 1
                                        ; implicit-def: $sgpr38
	s_delay_alu instid0(SALU_CYCLE_1) | instskip(SKIP_1) | instid1(SALU_CYCLE_1)
	s_cmpk_lg_i32 s36, 0x2710
	s_cselect_b32 s37, -1, 0
	s_and_b32 vcc_lo, exec_lo, s37
	s_cbranch_vccz .LBB12_440
.LBB12_437:                             ;   in Loop: Header=BB12_436 Depth=2
	s_and_not1_b32 s35, s35, exec_lo
	s_and_b32 s38, s38, exec_lo
	s_mov_b32 vcc_lo, -1
	s_or_b32 s35, s35, s38
	s_and_saveexec_b32 s38, s37
	s_cbranch_execz .LBB12_435
; %bb.438:                              ;   in Loop: Header=BB12_436 Depth=2
	s_sleep 1
	s_cbranch_execnz .LBB12_1356
; %bb.439:                              ;   in Loop: Header=BB12_436 Depth=2
	ds_load_b64 v[10:11], v0
	s_and_not1_b32 s35, s35, exec_lo
	s_waitcnt lgkmcnt(0)
	v_cmp_ge_u64_e32 vcc_lo, v[10:11], v[26:27]
	s_or_not1_b32 vcc_lo, vcc_lo, exec_lo
	s_branch .LBB12_435
.LBB12_440:                             ;   in Loop: Header=BB12_436 Depth=2
	s_cbranch_execnz .LBB12_1366
; %bb.441:                              ;   in Loop: Header=BB12_436 Depth=2
	ds_load_b64 v[10:11], v0
	s_and_not1_b32 s37, s37, exec_lo
	s_mov_b32 s36, 0
	s_mov_b32 s38, -1
	s_waitcnt lgkmcnt(0)
	flat_load_b32 v1, v[10:11] glc
	s_waitcnt vmcnt(0) lgkmcnt(0)
	buffer_gl1_inv
	buffer_gl0_inv
	v_cmp_eq_u32_e32 vcc_lo, 0, v1
	s_and_b32 vcc_lo, vcc_lo, exec_lo
	s_delay_alu instid0(SALU_CYCLE_1)
	s_or_b32 s37, s37, vcc_lo
	s_branch .LBB12_437
.LBB12_442:                             ;   in Loop: Header=BB12_107 Depth=1
	s_or_b32 exec_lo, exec_lo, s31
	s_and_saveexec_b32 vcc_lo, s34
	s_delay_alu instid0(SALU_CYCLE_1)
	s_xor_b32 vcc_lo, exec_lo, vcc_lo
	s_cbranch_execz .LBB12_444
; %bb.443:                              ;   in Loop: Header=BB12_107 Depth=1
	ds_store_b32 v0, v99
	s_cbranch_execnz .LBB12_1547
.LBB12_444:                             ;   in Loop: Header=BB12_107 Depth=1
	s_or_b32 exec_lo, exec_lo, s30
	;;#ASMSTART
	s_wakeup
	;;#ASMEND
.LBB12_445:                             ;   in Loop: Header=BB12_107 Depth=1
	s_or_b32 exec_lo, exec_lo, vcc_hi
.LBB12_446:                             ;   in Loop: Header=BB12_107 Depth=1
	s_and_not1_saveexec_b32 s17, s17
	s_cbranch_execz .LBB12_448
; %bb.447:                              ;   in Loop: Header=BB12_107 Depth=1
	s_waitcnt lgkmcnt(0)
	s_waitcnt_vscnt null, 0x0
	buffer_gl1_inv
	buffer_gl0_inv
	s_barrier
.LBB12_448:                             ;   in Loop: Header=BB12_107 Depth=1
	s_or_b32 exec_lo, exec_lo, s17
.LBB12_449:                             ;   in Loop: Header=BB12_107 Depth=1
	s_delay_alu instid0(SALU_CYCLE_1)
	s_or_b32 exec_lo, exec_lo, s16
	s_cbranch_execnz .LBB12_1175
; %bb.450:                              ;   in Loop: Header=BB12_107 Depth=1
	ds_load_b32 v10, v0
	v_and_b32_e32 v1, 0x4000, v48
	s_delay_alu instid0(VALU_DEP_1) | instskip(SKIP_1) | instid1(SALU_CYCLE_1)
	v_cmp_ne_u32_e32 vcc_lo, 0, v1
	s_and_b32 s17, s27, vcc_lo
	s_and_saveexec_b32 s16, s17
	s_cbranch_execz .LBB12_472
; %bb.451:                              ;   in Loop: Header=BB12_107 Depth=1
	s_and_saveexec_b32 s17, s4
	s_delay_alu instid0(SALU_CYCLE_1)
	s_xor_b32 s17, exec_lo, s17
	s_cbranch_execz .LBB12_469
; %bb.452:                              ;   in Loop: Header=BB12_107 Depth=1
	s_and_saveexec_b32 vcc_hi, s5
	s_cbranch_execz .LBB12_468
; %bb.453:                              ;   in Loop: Header=BB12_107 Depth=1
	s_mov_b32 s31, exec_lo
	s_mov_b32 s30, exec_lo
	v_mbcnt_lo_u32_b32 v1, s31, 0
	s_waitcnt lgkmcnt(0)
	s_waitcnt_vscnt null, 0x0
	buffer_gl1_inv
	buffer_gl0_inv
	v_cmpx_eq_u32_e32 0, v1
	s_cbranch_execz .LBB12_455
; %bb.454:                              ;   in Loop: Header=BB12_107 Depth=1
	s_bcnt1_i32_b32 vcc_lo, s31
	s_delay_alu instid0(SALU_CYCLE_1)
	v_mov_b32_e32 v1, vcc_lo
	ds_add_u64 v0, v[1:2]
	s_cbranch_execnz .LBB12_1350
.LBB12_455:                             ;   in Loop: Header=BB12_107 Depth=1
	s_or_b32 exec_lo, exec_lo, s30
	s_cbranch_execnz .LBB12_1332
; %bb.456:                              ;   in Loop: Header=BB12_107 Depth=1
	ds_load_b64 v[11:12], v0
	v_add_co_u32 v26, vcc_lo, v26, v54
	v_add_co_ci_u32_e32 v27, vcc_lo, 0, v27, vcc_lo
	s_mov_b32 s30, exec_lo
	s_waitcnt lgkmcnt(0)
	s_delay_alu instid0(VALU_DEP_1)
	v_cmpx_lt_u64_e64 v[11:12], v[26:27]
	s_cbranch_execz .LBB12_467
; %bb.457:                              ;   in Loop: Header=BB12_107 Depth=1
	s_mov_b32 s31, 0
	s_mov_b32 s36, 0
                                        ; implicit-def: $sgpr34
                                        ; implicit-def: $sgpr35
	s_branch .LBB12_459
.LBB12_458:                             ;   in Loop: Header=BB12_459 Depth=2
	s_or_b32 exec_lo, exec_lo, s38
	s_delay_alu instid0(SALU_CYCLE_1) | instskip(NEXT) | instid1(SALU_CYCLE_1)
	s_and_b32 vcc_lo, exec_lo, vcc_lo
	s_or_b32 s31, vcc_lo, s31
	s_and_not1_b32 vcc_lo, s34, exec_lo
	s_and_b32 s34, s35, exec_lo
	s_delay_alu instid0(SALU_CYCLE_1)
	s_or_b32 s34, vcc_lo, s34
	s_and_not1_b32 exec_lo, exec_lo, s31
	s_cbranch_execz .LBB12_465
.LBB12_459:                             ;   Parent Loop BB12_107 Depth=1
                                        ; =>  This Inner Loop Header: Depth=2
	s_add_i32 s36, s36, 1
                                        ; implicit-def: $sgpr38
	s_delay_alu instid0(SALU_CYCLE_1) | instskip(SKIP_1) | instid1(SALU_CYCLE_1)
	s_cmpk_lg_i32 s36, 0x2710
	s_cselect_b32 s37, -1, 0
	s_and_b32 vcc_lo, exec_lo, s37
	s_cbranch_vccz .LBB12_463
.LBB12_460:                             ;   in Loop: Header=BB12_459 Depth=2
	s_and_not1_b32 s35, s35, exec_lo
	s_and_b32 s38, s38, exec_lo
	s_mov_b32 vcc_lo, -1
	s_or_b32 s35, s35, s38
	s_and_saveexec_b32 s38, s37
	s_cbranch_execz .LBB12_458
; %bb.461:                              ;   in Loop: Header=BB12_459 Depth=2
	s_sleep 1
	s_cbranch_execnz .LBB12_1418
; %bb.462:                              ;   in Loop: Header=BB12_459 Depth=2
	ds_load_b64 v[11:12], v0
	s_and_not1_b32 s35, s35, exec_lo
	s_waitcnt lgkmcnt(0)
	v_cmp_ge_u64_e32 vcc_lo, v[11:12], v[26:27]
	s_or_not1_b32 vcc_lo, vcc_lo, exec_lo
	s_branch .LBB12_458
.LBB12_463:                             ;   in Loop: Header=BB12_459 Depth=2
	s_cbranch_execnz .LBB12_1455
; %bb.464:                              ;   in Loop: Header=BB12_459 Depth=2
	ds_load_b64 v[11:12], v0
	s_and_not1_b32 s37, s37, exec_lo
	s_mov_b32 s36, 0
	s_mov_b32 s38, -1
	s_waitcnt lgkmcnt(0)
	flat_load_b32 v1, v[11:12] glc
	s_waitcnt vmcnt(0) lgkmcnt(0)
	buffer_gl1_inv
	buffer_gl0_inv
	v_cmp_eq_u32_e32 vcc_lo, 0, v1
	s_and_b32 vcc_lo, vcc_lo, exec_lo
	s_delay_alu instid0(SALU_CYCLE_1)
	s_or_b32 s37, s37, vcc_lo
	s_branch .LBB12_460
.LBB12_465:                             ;   in Loop: Header=BB12_107 Depth=1
	s_or_b32 exec_lo, exec_lo, s31
	s_and_saveexec_b32 vcc_lo, s34
	s_delay_alu instid0(SALU_CYCLE_1)
	s_xor_b32 vcc_lo, exec_lo, vcc_lo
	s_cbranch_execz .LBB12_467
; %bb.466:                              ;   in Loop: Header=BB12_107 Depth=1
	ds_store_b32 v0, v99
	s_cbranch_execnz .LBB12_1571
.LBB12_467:                             ;   in Loop: Header=BB12_107 Depth=1
	s_or_b32 exec_lo, exec_lo, s30
	;;#ASMSTART
	s_wakeup
	;;#ASMEND
.LBB12_468:                             ;   in Loop: Header=BB12_107 Depth=1
	s_or_b32 exec_lo, exec_lo, vcc_hi
.LBB12_469:                             ;   in Loop: Header=BB12_107 Depth=1
	s_and_not1_saveexec_b32 s17, s17
	s_cbranch_execz .LBB12_471
; %bb.470:                              ;   in Loop: Header=BB12_107 Depth=1
	s_waitcnt lgkmcnt(0)
	s_waitcnt_vscnt null, 0x0
	buffer_gl1_inv
	buffer_gl0_inv
	s_barrier
.LBB12_471:                             ;   in Loop: Header=BB12_107 Depth=1
	s_or_b32 exec_lo, exec_lo, s17
.LBB12_472:                             ;   in Loop: Header=BB12_107 Depth=1
	s_delay_alu instid0(SALU_CYCLE_1)
	s_or_b32 exec_lo, exec_lo, s16
	s_cbranch_execnz .LBB12_1237
; %bb.473:                              ;   in Loop: Header=BB12_107 Depth=1
	ds_load_b64 v[11:12], v0
	v_min_i32_e32 v36, v36, v39
	s_waitcnt lgkmcnt(0)
	v_cmp_eq_u64_e32 vcc_lo, 0, v[11:12]
	s_or_b32 s16, vcc_lo, vcc_lo
	s_delay_alu instid0(SALU_CYCLE_1)
	s_and_b32 vcc_lo, exec_lo, s16
	s_mov_b32 s16, 0
	s_cbranch_vccnz .LBB12_506
; %bb.474:                              ;   in Loop: Header=BB12_107 Depth=1
	s_mov_b32 s16, -1
	s_and_saveexec_b32 s17, s6
	s_cbranch_execz .LBB12_476
; %bb.475:                              ;   in Loop: Header=BB12_107 Depth=1
	ds_load_b32 v1, v0 offset:720
	s_waitcnt lgkmcnt(0)
	v_and_b32_e32 v1, 15, v1
	s_delay_alu instid0(VALU_DEP_1)
	v_cmp_eq_u32_e32 vcc_lo, 0, v1
	s_or_not1_b32 s16, vcc_lo, exec_lo
.LBB12_476:                             ;   in Loop: Header=BB12_107 Depth=1
	s_or_b32 exec_lo, exec_lo, s17
	s_and_saveexec_b32 s17, s10
	s_cbranch_execz .LBB12_478
; %bb.477:                              ;   in Loop: Header=BB12_107 Depth=1
	ds_load_b32 v1, v0 offset:784
	s_waitcnt lgkmcnt(0)
	v_and_b32_e32 v1, 15, v1
	s_delay_alu instid0(VALU_DEP_1) | instskip(SKIP_3) | instid1(SALU_CYCLE_1)
	v_cmp_eq_u32_e32 vcc_lo, 0, v1
	s_and_b32 vcc_lo, s16, vcc_lo
	s_and_not1_b32 s16, s16, exec_lo
	s_and_b32 vcc_lo, vcc_lo, exec_lo
	s_or_b32 s16, s16, vcc_lo
.LBB12_478:                             ;   in Loop: Header=BB12_107 Depth=1
	s_or_b32 exec_lo, exec_lo, s17
	v_cmp_eq_u32_e32 vcc_lo, 0, v10
	s_xor_b32 s16, s16, -1
	v_mov_b32_e32 v103, v51
	v_cndmask_b32_e64 v11, 0, 1, s16
	;;#ASMSTART
	;;#ASMEND
	v_dual_cndmask_b32 v1, 0, v36 :: v_dual_mov_b32 v38, 0
	s_delay_alu instid0(VALU_DEP_2) | instskip(SKIP_1) | instid1(VALU_DEP_2)
	v_cmp_ne_u32_e32 vcc_lo, 0, v11
	s_mov_b32 s16, -1
	v_dual_mov_b32 v100, v0 :: v_dual_mov_b32 v37, v1
	s_cbranch_vccnz .LBB12_494
; %bb.479:                              ;   in Loop: Header=BB12_107 Depth=1
	v_ashrrev_i32_e32 v10, 31, v1
	s_mov_b32 s16, exec_lo
	s_delay_alu instid0(VALU_DEP_1) | instskip(NEXT) | instid1(VALU_DEP_1)
	v_lshrrev_b32_e32 v10, 20, v10
	v_add_nc_u32_e32 v10, v1, v10
	s_delay_alu instid0(VALU_DEP_1) | instskip(NEXT) | instid1(VALU_DEP_1)
	v_ashrrev_i32_e32 v37, 12, v10
	v_sub_nc_u32_e32 v101, v37, v51
	s_delay_alu instid0(VALU_DEP_1)
	v_cmpx_lt_i32_e32 0, v101
	s_cbranch_execz .LBB12_484
; %bb.480:                              ;   in Loop: Header=BB12_107 Depth=1
	s_cbranch_execnz .LBB12_1372
; %bb.481:                              ;   in Loop: Header=BB12_107 Depth=1
	ds_load_b64 v[10:11], v0
	s_mov_b32 s17, 0
	s_waitcnt lgkmcnt(0)
	v_dual_mov_b32 v13, v11 :: v_dual_mov_b32 v12, v10
.LBB12_482:                             ;   Parent Loop BB12_107 Depth=1
                                        ; =>  This Inner Loop Header: Depth=2
	s_delay_alu instid0(VALU_DEP_1) | instskip(NEXT) | instid1(VALU_DEP_2)
	v_add_co_u32 v102, vcc_lo, v85, v12
	v_add_co_ci_u32_e32 v103, vcc_lo, v96, v13, vcc_lo
	v_sub_nc_u32_e32 v101, v101, v54
	s_clause 0x7
	global_load_b128 v[112:115], v[102:103], off slc dlc
	global_load_b128 v[116:119], v[102:103], off offset:512 slc dlc
	global_load_b128 v[128:131], v[102:103], off offset:1024 slc dlc
	;; [unrolled: 1-line block ×7, first 2 shown]
	v_add_co_u32 v102, vcc_lo, v85, v10
	v_add_co_ci_u32_e32 v103, vcc_lo, v96, v11, vcc_lo
	v_add_co_u32 v12, vcc_lo, v12, v97
	v_add_co_ci_u32_e32 v13, vcc_lo, v13, v98, vcc_lo
	;; [unrolled: 2-line block ×3, first 2 shown]
	v_cmp_gt_i32_e32 vcc_lo, 1, v101
	s_waitcnt vmcnt(7)
	global_store_b128 v[102:103], v[112:115], off glc slc dlc
	s_waitcnt vmcnt(6)
	global_store_b128 v[102:103], v[116:119], off offset:512 glc slc dlc
	s_waitcnt vmcnt(5)
	global_store_b128 v[102:103], v[128:131], off offset:1024 glc slc dlc
	s_waitcnt vmcnt(4)
	global_store_b128 v[102:103], v[132:135], off offset:1536 glc slc dlc
	s_waitcnt vmcnt(3)
	global_store_b128 v[102:103], v[144:147], off offset:2048 glc slc dlc
	s_waitcnt vmcnt(2)
	global_store_b128 v[102:103], v[148:151], off offset:2560 glc slc dlc
	s_waitcnt vmcnt(1)
	global_store_b128 v[102:103], v[160:163], off offset:3072 glc slc dlc
	s_waitcnt vmcnt(0)
	global_store_b128 v[102:103], v[164:167], off offset:3584 glc slc dlc
	s_or_b32 s17, vcc_lo, s17
	s_delay_alu instid0(SALU_CYCLE_1)
	s_and_not1_b32 exec_lo, exec_lo, s17
	s_cbranch_execnz .LBB12_482
; %bb.483:                              ;   in Loop: Header=BB12_107 Depth=1
	s_or_b32 exec_lo, exec_lo, s17
.LBB12_484:                             ;   in Loop: Header=BB12_107 Depth=1
	s_delay_alu instid0(SALU_CYCLE_1) | instskip(SKIP_4) | instid1(VALU_DEP_2)
	s_or_b32 exec_lo, exec_lo, s16
	v_lshlrev_b32_e32 v12, 12, v37
	v_mov_b32_e32 v38, 0
	s_mov_b32 s16, 0
	s_mov_b32 vcc_hi, exec_lo
                                        ; implicit-def: $vgpr37
                                        ; implicit-def: $vgpr100
                                        ; implicit-def: $vgpr103
	v_cmpx_ne_u32_e64 v1, v12
	s_cbranch_execz .LBB12_493
; %bb.485:                              ;   in Loop: Header=BB12_107 Depth=1
	v_lshlrev_b32_e32 v10, 5, v101
	v_sub_nc_u32_e32 v37, v1, v12
	s_mov_b32 s30, exec_lo
	s_delay_alu instid0(VALU_DEP_2) | instskip(NEXT) | instid1(VALU_DEP_2)
	v_sub_nc_u32_e32 v10, v53, v10
	v_ashrrev_i32_e32 v13, 31, v37
	s_delay_alu instid0(VALU_DEP_2) | instskip(NEXT) | instid1(VALU_DEP_2)
	v_ashrrev_i32_e32 v11, 31, v10
	v_lshrrev_b32_e32 v13, 23, v13
	s_delay_alu instid0(VALU_DEP_2) | instskip(NEXT) | instid1(VALU_DEP_2)
	v_lshrrev_b32_e32 v11, 27, v11
	v_add_nc_u32_e32 v100, v37, v13
	s_delay_alu instid0(VALU_DEP_2) | instskip(NEXT) | instid1(VALU_DEP_2)
	v_add_nc_u32_e32 v11, v10, v11
	v_and_b32_e32 v13, 0xfffffe00, v100
	v_ashrrev_i32_e32 v100, 9, v100
	s_delay_alu instid0(VALU_DEP_3) | instskip(NEXT) | instid1(VALU_DEP_3)
	v_and_b32_e32 v38, 0xffffffe0, v11
	v_sub_nc_u32_e32 v102, v37, v13
	s_delay_alu instid0(VALU_DEP_2) | instskip(SKIP_1) | instid1(VALU_DEP_3)
	v_sub_nc_u32_e32 v101, v10, v38
	v_ashrrev_i32_e32 v10, 5, v11
	v_cmp_lt_i32_e32 vcc_lo, 15, v102
	s_delay_alu instid0(VALU_DEP_3) | instskip(NEXT) | instid1(VALU_DEP_1)
	v_lshlrev_b32_e32 v11, 4, v101
	v_lshl_add_u32 v38, v10, 9, v11
	v_add_co_ci_u32_e64 v11, s16, 0, v100, vcc_lo
	s_delay_alu instid0(VALU_DEP_2) | instskip(NEXT) | instid1(VALU_DEP_2)
	v_sub_nc_u32_e32 v37, v37, v38
	v_sub_nc_u32_e32 v112, v11, v10
	s_delay_alu instid0(VALU_DEP_2)
	v_cmpx_lt_i32_e32 15, v37
	s_cbranch_execz .LBB12_490
; %bb.486:                              ;   in Loop: Header=BB12_107 Depth=1
	s_cbranch_execnz .LBB12_1473
; %bb.487:                              ;   in Loop: Header=BB12_107 Depth=1
	ds_load_b64 v[10:11], v0
	v_add_nc_u32_e32 v38, v38, v12
	s_mov_b32 s31, 0
	s_delay_alu instid0(VALU_DEP_1)
	v_ashrrev_i32_e32 v100, 31, v38
.LBB12_488:                             ;   Parent Loop BB12_107 Depth=1
                                        ; =>  This Inner Loop Header: Depth=2
	s_waitcnt lgkmcnt(0)
	v_add_co_u32 v117, s16, v10, v38
	s_delay_alu instid0(VALU_DEP_1)
	v_add_co_ci_u32_e64 v118, s16, v11, v100, s16
	v_sub_nc_u32_e32 v37, v37, v64
	v_add_co_u32 v38, s17, v38, v71
	global_load_b128 v[113:116], v[117:118], off slc dlc
	v_sub_nc_u32_e32 v112, v112, v54
	v_cmp_gt_i32_e64 s16, 16, v37
	v_add_co_ci_u32_e64 v100, s17, v100, v80, s17
	s_delay_alu instid0(VALU_DEP_2)
	s_or_b32 s31, s16, s31
	s_waitcnt vmcnt(0)
	global_store_b128 v[117:118], v[113:116], off glc slc dlc
	s_and_not1_b32 exec_lo, exec_lo, s31
	s_cbranch_execnz .LBB12_488
; %bb.489:                              ;   in Loop: Header=BB12_107 Depth=1
	s_or_b32 exec_lo, exec_lo, s31
.LBB12_490:                             ;   in Loop: Header=BB12_107 Depth=1
	s_delay_alu instid0(SALU_CYCLE_1) | instskip(SKIP_3) | instid1(VALU_DEP_1)
	s_or_b32 exec_lo, exec_lo, s30
	v_and_b32_e32 v10, 15, v1
	s_mov_b32 s17, 0
	s_mov_b32 s30, exec_lo
                                        ; implicit-def: $vgpr100
                                        ; implicit-def: $vgpr103
	v_dual_mov_b32 v38, 0 :: v_dual_cndmask_b32 v37, v102, v10
	s_delay_alu instid0(VALU_DEP_1)
	v_cmpx_ne_u32_e32 0, v37
; %bb.491:                              ;   in Loop: Header=BB12_107 Depth=1
	v_cmp_lt_i32_e64 s16, 0, v112
	v_sub_nc_u32_e32 v10, v102, v10
	s_mov_b32 s17, exec_lo
	s_delay_alu instid0(VALU_DEP_2) | instskip(NEXT) | instid1(VALU_DEP_1)
	v_cndmask_b32_e64 v11, 0, v54, s16
	v_sub_nc_u32_e32 v11, v11, v112
	s_delay_alu instid0(VALU_DEP_1) | instskip(NEXT) | instid1(VALU_DEP_1)
	v_lshl_add_u32 v100, v11, 5, v101
	v_ashrrev_i32_e32 v11, 31, v100
	s_delay_alu instid0(VALU_DEP_1) | instskip(NEXT) | instid1(VALU_DEP_1)
	v_lshrrev_b32_e32 v11, 27, v11
	v_dual_cndmask_b32 v10, 0, v10 :: v_dual_add_nc_u32 v11, v100, v11
	s_delay_alu instid0(VALU_DEP_1) | instskip(NEXT) | instid1(VALU_DEP_2)
	v_add3_u32 v38, v13, v12, v10
	v_ashrrev_i32_e32 v103, 5, v11
; %bb.492:                              ;   in Loop: Header=BB12_107 Depth=1
	s_or_b32 exec_lo, exec_lo, s30
	s_delay_alu instid0(SALU_CYCLE_1)
	s_and_b32 s16, s17, exec_lo
.LBB12_493:                             ;   in Loop: Header=BB12_107 Depth=1
	s_or_b32 exec_lo, exec_lo, vcc_hi
.LBB12_494:                             ;   in Loop: Header=BB12_107 Depth=1
	s_and_saveexec_b32 s17, s16
	s_cbranch_execz .LBB12_505
; %bb.495:                              ;   in Loop: Header=BB12_107 Depth=1
	s_delay_alu instid0(VALU_DEP_1) | instskip(SKIP_1) | instid1(VALU_DEP_1)
	v_ashrrev_i32_e32 v10, 31, v37
	s_mov_b32 s16, exec_lo
	v_lshrrev_b32_e32 v10, 22, v10
	s_delay_alu instid0(VALU_DEP_1) | instskip(NEXT) | instid1(VALU_DEP_1)
	v_add_nc_u32_e32 v10, v37, v10
	v_ashrrev_i32_e32 v102, 10, v10
	s_delay_alu instid0(VALU_DEP_1) | instskip(NEXT) | instid1(VALU_DEP_1)
	v_sub_nc_u32_e32 v101, v102, v103
	v_cmpx_lt_i32_e32 0, v101
	s_cbranch_execz .LBB12_500
; %bb.496:                              ;   in Loop: Header=BB12_107 Depth=1
	s_cbranch_execnz .LBB12_1358
; %bb.497:                              ;   in Loop: Header=BB12_107 Depth=1
	v_ashrrev_i32_e32 v10, 31, v100
	s_mov_b32 vcc_hi, 0
	s_delay_alu instid0(VALU_DEP_1) | instskip(NEXT) | instid1(VALU_DEP_1)
	v_lshrrev_b32_e32 v10, 27, v10
	v_add_nc_u32_e32 v12, v100, v10
	ds_load_b64 v[10:11], v0
	v_lshlrev_b32_e32 v13, 10, v103
	v_and_b32_e32 v12, 0xffffffe0, v12
	s_delay_alu instid0(VALU_DEP_1) | instskip(NEXT) | instid1(VALU_DEP_1)
	v_sub_nc_u32_e32 v12, v100, v12
	v_add3_u32 v103, v38, v12, v13
	s_delay_alu instid0(VALU_DEP_1)
	v_ashrrev_i32_e32 v112, 31, v103
	s_waitcnt lgkmcnt(0)
	v_dual_mov_b32 v13, v11 :: v_dual_mov_b32 v12, v10
.LBB12_498:                             ;   Parent Loop BB12_107 Depth=1
                                        ; =>  This Inner Loop Header: Depth=2
	s_delay_alu instid0(VALU_DEP_1) | instskip(NEXT) | instid1(VALU_DEP_2)
	v_add_co_u32 v113, vcc_lo, v103, v12
	v_add_co_ci_u32_e32 v114, vcc_lo, v112, v13, vcc_lo
	v_sub_nc_u32_e32 v101, v101, v54
	s_clause 0x1f
	flat_load_u8 v115, v[113:114] slc dlc
	flat_load_u8 v116, v[113:114] offset:32 slc dlc
	flat_load_u8 v117, v[113:114] offset:64 slc dlc
	flat_load_u8 v118, v[113:114] offset:96 slc dlc
	flat_load_u8 v119, v[113:114] offset:128 slc dlc
	flat_load_u8 v128, v[113:114] offset:160 slc dlc
	flat_load_u8 v129, v[113:114] offset:192 slc dlc
	flat_load_u8 v130, v[113:114] offset:224 slc dlc
	flat_load_u8 v131, v[113:114] offset:256 slc dlc
	flat_load_u8 v132, v[113:114] offset:288 slc dlc
	flat_load_u8 v133, v[113:114] offset:320 slc dlc
	flat_load_u8 v134, v[113:114] offset:352 slc dlc
	flat_load_u8 v135, v[113:114] offset:384 slc dlc
	flat_load_u8 v144, v[113:114] offset:416 slc dlc
	flat_load_u8 v145, v[113:114] offset:448 slc dlc
	flat_load_u8 v146, v[113:114] offset:480 slc dlc
	flat_load_u8 v147, v[113:114] offset:512 slc dlc
	flat_load_u8 v148, v[113:114] offset:544 slc dlc
	flat_load_u8 v149, v[113:114] offset:576 slc dlc
	flat_load_u8 v150, v[113:114] offset:608 slc dlc
	flat_load_u8 v151, v[113:114] offset:640 slc dlc
	flat_load_u8 v160, v[113:114] offset:672 slc dlc
	flat_load_u8 v161, v[113:114] offset:704 slc dlc
	flat_load_u8 v162, v[113:114] offset:736 slc dlc
	flat_load_u8 v163, v[113:114] offset:768 slc dlc
	flat_load_u8 v164, v[113:114] offset:800 slc dlc
	flat_load_u8 v165, v[113:114] offset:832 slc dlc
	flat_load_u8 v166, v[113:114] offset:864 slc dlc
	flat_load_u8 v167, v[113:114] offset:896 slc dlc
	flat_load_u8 v176, v[113:114] offset:928 slc dlc
	flat_load_u8 v177, v[113:114] offset:960 slc dlc
	flat_load_u8 v178, v[113:114] offset:992 slc dlc
	v_add_co_u32 v113, vcc_lo, v103, v10
	v_add_co_ci_u32_e32 v114, vcc_lo, v112, v11, vcc_lo
	v_add_co_u32 v12, vcc_lo, v12, v82
	v_add_co_ci_u32_e32 v13, vcc_lo, v13, v83, vcc_lo
	;; [unrolled: 2-line block ×3, first 2 shown]
	v_cmp_gt_i32_e32 vcc_lo, 1, v101
	s_waitcnt vmcnt(31) lgkmcnt(31)
	flat_store_b8 v[113:114], v115 glc slc dlc
	s_waitcnt vmcnt(30) lgkmcnt(31)
	flat_store_b8 v[113:114], v116 offset:32 glc slc dlc
	s_waitcnt vmcnt(29) lgkmcnt(31)
	flat_store_b8 v[113:114], v117 offset:64 glc slc dlc
	s_waitcnt vmcnt(28) lgkmcnt(31)
	flat_store_b8 v[113:114], v118 offset:96 glc slc dlc
	s_waitcnt vmcnt(27) lgkmcnt(31)
	flat_store_b8 v[113:114], v119 offset:128 glc slc dlc
	s_waitcnt vmcnt(26) lgkmcnt(31)
	flat_store_b8 v[113:114], v128 offset:160 glc slc dlc
	s_waitcnt vmcnt(25) lgkmcnt(31)
	flat_store_b8 v[113:114], v129 offset:192 glc slc dlc
	s_waitcnt vmcnt(24) lgkmcnt(31)
	flat_store_b8 v[113:114], v130 offset:224 glc slc dlc
	s_waitcnt vmcnt(23) lgkmcnt(31)
	flat_store_b8 v[113:114], v131 offset:256 glc slc dlc
	s_waitcnt vmcnt(22) lgkmcnt(31)
	flat_store_b8 v[113:114], v132 offset:288 glc slc dlc
	s_waitcnt vmcnt(21) lgkmcnt(31)
	flat_store_b8 v[113:114], v133 offset:320 glc slc dlc
	s_waitcnt vmcnt(20) lgkmcnt(31)
	flat_store_b8 v[113:114], v134 offset:352 glc slc dlc
	s_waitcnt vmcnt(19) lgkmcnt(31)
	flat_store_b8 v[113:114], v135 offset:384 glc slc dlc
	s_waitcnt vmcnt(18) lgkmcnt(31)
	flat_store_b8 v[113:114], v144 offset:416 glc slc dlc
	s_waitcnt vmcnt(17) lgkmcnt(31)
	flat_store_b8 v[113:114], v145 offset:448 glc slc dlc
	s_waitcnt vmcnt(16) lgkmcnt(31)
	flat_store_b8 v[113:114], v146 offset:480 glc slc dlc
	s_waitcnt vmcnt(15) lgkmcnt(31)
	flat_store_b8 v[113:114], v147 offset:512 glc slc dlc
	s_waitcnt vmcnt(14) lgkmcnt(31)
	flat_store_b8 v[113:114], v148 offset:544 glc slc dlc
	s_waitcnt vmcnt(13) lgkmcnt(31)
	flat_store_b8 v[113:114], v149 offset:576 glc slc dlc
	s_waitcnt vmcnt(12) lgkmcnt(31)
	flat_store_b8 v[113:114], v150 offset:608 glc slc dlc
	s_waitcnt vmcnt(11) lgkmcnt(31)
	flat_store_b8 v[113:114], v151 offset:640 glc slc dlc
	s_waitcnt vmcnt(10) lgkmcnt(31)
	flat_store_b8 v[113:114], v160 offset:672 glc slc dlc
	s_waitcnt vmcnt(9) lgkmcnt(31)
	flat_store_b8 v[113:114], v161 offset:704 glc slc dlc
	s_waitcnt vmcnt(8) lgkmcnt(31)
	flat_store_b8 v[113:114], v162 offset:736 glc slc dlc
	s_waitcnt vmcnt(7) lgkmcnt(31)
	flat_store_b8 v[113:114], v163 offset:768 glc slc dlc
	s_waitcnt vmcnt(6) lgkmcnt(31)
	flat_store_b8 v[113:114], v164 offset:800 glc slc dlc
	s_waitcnt vmcnt(5) lgkmcnt(31)
	flat_store_b8 v[113:114], v165 offset:832 glc slc dlc
	s_waitcnt vmcnt(4) lgkmcnt(31)
	flat_store_b8 v[113:114], v166 offset:864 glc slc dlc
	s_waitcnt vmcnt(3) lgkmcnt(31)
	flat_store_b8 v[113:114], v167 offset:896 glc slc dlc
	s_waitcnt vmcnt(2) lgkmcnt(31)
	flat_store_b8 v[113:114], v176 offset:928 glc slc dlc
	s_waitcnt vmcnt(1) lgkmcnt(31)
	flat_store_b8 v[113:114], v177 offset:960 glc slc dlc
	s_waitcnt vmcnt(0) lgkmcnt(31)
	flat_store_b8 v[113:114], v178 offset:992 glc slc dlc
	s_or_b32 vcc_hi, vcc_lo, vcc_hi
	s_delay_alu instid0(SALU_CYCLE_1)
	s_and_not1_b32 exec_lo, exec_lo, vcc_hi
	s_cbranch_execnz .LBB12_498
; %bb.499:                              ;   in Loop: Header=BB12_107 Depth=1
	s_or_b32 exec_lo, exec_lo, vcc_hi
.LBB12_500:                             ;   in Loop: Header=BB12_107 Depth=1
	s_delay_alu instid0(SALU_CYCLE_1) | instskip(SKIP_1) | instid1(VALU_DEP_1)
	s_or_b32 exec_lo, exec_lo, s16
	v_lshlrev_b32_e32 v10, 10, v102
	v_cmp_ne_u32_e32 vcc_lo, v37, v10
	s_and_b32 exec_lo, exec_lo, vcc_lo
	s_cbranch_execz .LBB12_505
; %bb.501:                              ;   in Loop: Header=BB12_107 Depth=1
	v_ashrrev_i32_e32 v11, 31, v100
	v_lshlrev_b32_e32 v12, 5, v101
	s_delay_alu instid0(VALU_DEP_2) | instskip(NEXT) | instid1(VALU_DEP_1)
	v_lshrrev_b32_e32 v11, 27, v11
	v_add_nc_u32_e32 v11, v100, v11
	s_delay_alu instid0(VALU_DEP_1) | instskip(NEXT) | instid1(VALU_DEP_1)
	v_and_b32_e32 v11, 0xffffffe0, v11
	v_sub_nc_u32_e32 v11, v100, v11
	s_delay_alu instid0(VALU_DEP_1) | instskip(NEXT) | instid1(VALU_DEP_1)
	v_sub_nc_u32_e32 v11, v11, v12
	v_add_nc_u32_e32 v13, v10, v11
	s_delay_alu instid0(VALU_DEP_1) | instskip(NEXT) | instid1(VALU_DEP_1)
	v_sub_nc_u32_e32 v12, v37, v13
	v_cmp_lt_i32_e32 vcc_lo, 0, v12
	s_and_b32 exec_lo, exec_lo, vcc_lo
	s_cbranch_execz .LBB12_505
; %bb.502:                              ;   in Loop: Header=BB12_107 Depth=1
	s_cbranch_execnz .LBB12_1463
; %bb.503:                              ;   in Loop: Header=BB12_107 Depth=1
	ds_load_b64 v[10:11], v0
	v_add_nc_u32_e32 v13, v13, v38
	s_mov_b32 vcc_hi, 0
	s_delay_alu instid0(VALU_DEP_1)
	v_ashrrev_i32_e32 v37, 31, v13
.LBB12_504:                             ;   Parent Loop BB12_107 Depth=1
                                        ; =>  This Inner Loop Header: Depth=2
	s_waitcnt lgkmcnt(0)
	v_add_co_u32 v100, vcc_lo, v10, v13
	s_delay_alu instid0(VALU_DEP_2)
	v_add_co_ci_u32_e32 v101, vcc_lo, v11, v37, vcc_lo
	v_sub_nc_u32_e32 v12, v12, v70
	v_add_co_u32 v13, s16, v13, v86
	flat_load_u8 v38, v[100:101] slc dlc
	v_add_co_ci_u32_e64 v37, s16, v37, v87, s16
	v_cmp_gt_i32_e32 vcc_lo, 1, v12
	s_or_b32 vcc_hi, vcc_lo, vcc_hi
	s_waitcnt vmcnt(0) lgkmcnt(0)
	flat_store_b8 v[100:101], v38 glc slc dlc
	s_and_not1_b32 exec_lo, exec_lo, vcc_hi
	s_cbranch_execnz .LBB12_504
.LBB12_505:                             ;   in Loop: Header=BB12_107 Depth=1
	s_or_b32 exec_lo, exec_lo, s17
	v_cmp_lt_i32_e64 s16, 0, v1
.LBB12_506:                             ;   in Loop: Header=BB12_107 Depth=1
	s_and_saveexec_b32 s17, s3
	s_cbranch_execz .LBB12_528
; %bb.507:                              ;   in Loop: Header=BB12_107 Depth=1
	s_and_saveexec_b32 vcc_lo, s4
	s_delay_alu instid0(SALU_CYCLE_1)
	s_xor_b32 vcc_hi, exec_lo, vcc_lo
	s_cbranch_execz .LBB12_525
; %bb.508:                              ;   in Loop: Header=BB12_107 Depth=1
	s_and_saveexec_b32 s30, s5
	s_cbranch_execz .LBB12_524
; %bb.509:                              ;   in Loop: Header=BB12_107 Depth=1
	s_mov_b32 s34, exec_lo
	s_mov_b32 s31, exec_lo
	v_mbcnt_lo_u32_b32 v1, s34, 0
	s_waitcnt lgkmcnt(0)
	s_waitcnt_vscnt null, 0x0
	buffer_gl1_inv
	buffer_gl0_inv
	v_cmpx_eq_u32_e32 0, v1
	s_cbranch_execz .LBB12_511
; %bb.510:                              ;   in Loop: Header=BB12_107 Depth=1
	s_bcnt1_i32_b32 vcc_lo, s34
	s_delay_alu instid0(SALU_CYCLE_1)
	v_mov_b32_e32 v1, vcc_lo
	ds_add_u64 v0, v[1:2]
	s_cbranch_execnz .LBB12_1422
.LBB12_511:                             ;   in Loop: Header=BB12_107 Depth=1
	s_or_b32 exec_lo, exec_lo, s31
	s_cbranch_execnz .LBB12_1380
; %bb.512:                              ;   in Loop: Header=BB12_107 Depth=1
	ds_load_b64 v[10:11], v0
	v_add_co_u32 v26, vcc_lo, v26, v54
	v_add_co_ci_u32_e32 v27, vcc_lo, 0, v27, vcc_lo
	s_mov_b32 s31, exec_lo
	s_waitcnt lgkmcnt(0)
	s_delay_alu instid0(VALU_DEP_1)
	v_cmpx_lt_u64_e64 v[10:11], v[26:27]
	s_cbranch_execz .LBB12_523
; %bb.513:                              ;   in Loop: Header=BB12_107 Depth=1
	s_mov_b32 s34, 0
	s_mov_b32 s37, 0
                                        ; implicit-def: $sgpr35
                                        ; implicit-def: $sgpr36
	s_branch .LBB12_515
.LBB12_514:                             ;   in Loop: Header=BB12_515 Depth=2
	s_or_b32 exec_lo, exec_lo, s39
	s_delay_alu instid0(SALU_CYCLE_1) | instskip(NEXT) | instid1(SALU_CYCLE_1)
	s_and_b32 vcc_lo, exec_lo, vcc_lo
	s_or_b32 s34, vcc_lo, s34
	s_and_not1_b32 vcc_lo, s35, exec_lo
	s_and_b32 s35, s36, exec_lo
	s_delay_alu instid0(SALU_CYCLE_1)
	s_or_b32 s35, vcc_lo, s35
	s_and_not1_b32 exec_lo, exec_lo, s34
	s_cbranch_execz .LBB12_521
.LBB12_515:                             ;   Parent Loop BB12_107 Depth=1
                                        ; =>  This Inner Loop Header: Depth=2
	s_add_i32 s37, s37, 1
                                        ; implicit-def: $sgpr39
	s_delay_alu instid0(SALU_CYCLE_1) | instskip(SKIP_1) | instid1(SALU_CYCLE_1)
	s_cmpk_lg_i32 s37, 0x2710
	s_cselect_b32 s38, -1, 0
	s_and_b32 vcc_lo, exec_lo, s38
	s_cbranch_vccz .LBB12_519
.LBB12_516:                             ;   in Loop: Header=BB12_515 Depth=2
	s_and_not1_b32 s36, s36, exec_lo
	s_and_b32 s39, s39, exec_lo
	s_mov_b32 vcc_lo, -1
	s_or_b32 s36, s36, s39
	s_and_saveexec_b32 s39, s38
	s_cbranch_execz .LBB12_514
; %bb.517:                              ;   in Loop: Header=BB12_515 Depth=2
	s_sleep 1
	s_cbranch_execnz .LBB12_1491
; %bb.518:                              ;   in Loop: Header=BB12_515 Depth=2
	ds_load_b64 v[10:11], v0
	s_and_not1_b32 s36, s36, exec_lo
	s_waitcnt lgkmcnt(0)
	v_cmp_ge_u64_e32 vcc_lo, v[10:11], v[26:27]
	s_or_not1_b32 vcc_lo, vcc_lo, exec_lo
	s_branch .LBB12_514
.LBB12_519:                             ;   in Loop: Header=BB12_515 Depth=2
	s_cbranch_execnz .LBB12_1501
; %bb.520:                              ;   in Loop: Header=BB12_515 Depth=2
	ds_load_b64 v[10:11], v0
	s_and_not1_b32 s38, s38, exec_lo
	s_mov_b32 s37, 0
	s_mov_b32 s39, -1
	s_waitcnt lgkmcnt(0)
	flat_load_b32 v1, v[10:11] glc
	s_waitcnt vmcnt(0) lgkmcnt(0)
	buffer_gl1_inv
	buffer_gl0_inv
	v_cmp_eq_u32_e32 vcc_lo, 0, v1
	s_and_b32 vcc_lo, vcc_lo, exec_lo
	s_delay_alu instid0(SALU_CYCLE_1)
	s_or_b32 s38, s38, vcc_lo
	s_branch .LBB12_516
.LBB12_521:                             ;   in Loop: Header=BB12_107 Depth=1
	s_or_b32 exec_lo, exec_lo, s34
	s_and_saveexec_b32 vcc_lo, s35
	s_delay_alu instid0(SALU_CYCLE_1)
	s_xor_b32 vcc_lo, exec_lo, vcc_lo
	s_cbranch_execz .LBB12_523
; %bb.522:                              ;   in Loop: Header=BB12_107 Depth=1
	ds_store_b32 v0, v99
	s_cbranch_execnz .LBB12_1575
.LBB12_523:                             ;   in Loop: Header=BB12_107 Depth=1
	s_or_b32 exec_lo, exec_lo, s31
	;;#ASMSTART
	s_wakeup
	;;#ASMEND
.LBB12_524:                             ;   in Loop: Header=BB12_107 Depth=1
	s_or_b32 exec_lo, exec_lo, s30
.LBB12_525:                             ;   in Loop: Header=BB12_107 Depth=1
	s_and_not1_saveexec_b32 vcc_lo, vcc_hi
	s_cbranch_execz .LBB12_527
; %bb.526:                              ;   in Loop: Header=BB12_107 Depth=1
	s_waitcnt lgkmcnt(0)
	s_waitcnt_vscnt null, 0x0
	buffer_gl1_inv
	buffer_gl0_inv
	s_barrier
.LBB12_527:                             ;   in Loop: Header=BB12_107 Depth=1
	s_or_b32 exec_lo, exec_lo, vcc_lo
.LBB12_528:                             ;   in Loop: Header=BB12_107 Depth=1
	s_delay_alu instid0(SALU_CYCLE_1) | instskip(SKIP_1) | instid1(SALU_CYCLE_1)
	s_or_b32 exec_lo, exec_lo, s17
	s_and_saveexec_b32 s17, s11
	s_xor_b32 s17, exec_lo, s17
	s_cbranch_execz .LBB12_532
; %bb.529:                              ;   in Loop: Header=BB12_107 Depth=1
	v_and_b32_e32 v1, 16, v48
	s_delay_alu instid0(VALU_DEP_1) | instskip(SKIP_1) | instid1(SALU_CYCLE_1)
	v_cmp_ne_u32_e32 vcc_lo, 0, v1
	s_and_b32 vcc_lo, vcc_lo, s16
	s_and_saveexec_b32 s16, vcc_lo
	s_cbranch_execz .LBB12_531
; %bb.530:                              ;   in Loop: Header=BB12_107 Depth=1
	s_waitcnt lgkmcnt(0)
	s_waitcnt_vscnt null, 0x0
	buffer_gl1_inv
	buffer_gl0_inv
.LBB12_531:                             ;   in Loop: Header=BB12_107 Depth=1
	s_or_b32 exec_lo, exec_lo, s16
.LBB12_532:                             ;   in Loop: Header=BB12_107 Depth=1
	s_and_not1_saveexec_b32 s16, s17
	s_cbranch_execz .LBB12_554
; %bb.533:                              ;   in Loop: Header=BB12_107 Depth=1
	s_and_saveexec_b32 s17, s4
	s_delay_alu instid0(SALU_CYCLE_1)
	s_xor_b32 s17, exec_lo, s17
	s_cbranch_execz .LBB12_551
; %bb.534:                              ;   in Loop: Header=BB12_107 Depth=1
	s_and_saveexec_b32 vcc_hi, s5
	s_cbranch_execz .LBB12_550
; %bb.535:                              ;   in Loop: Header=BB12_107 Depth=1
	s_mov_b32 s31, exec_lo
	s_mov_b32 s30, exec_lo
	v_mbcnt_lo_u32_b32 v1, s31, 0
	;;#ASMSTART
	s_waitcnt lgkmcnt(0) vmcnt(0)
	;;#ASMEND
	s_delay_alu instid0(VALU_DEP_1)
	v_cmpx_eq_u32_e32 0, v1
	s_cbranch_execz .LBB12_537
; %bb.536:                              ;   in Loop: Header=BB12_107 Depth=1
	s_bcnt1_i32_b32 vcc_lo, s31
	s_delay_alu instid0(SALU_CYCLE_1)
	v_mov_b32_e32 v1, vcc_lo
	ds_add_u64 v0, v[1:2]
	s_cbranch_execnz .LBB12_1443
.LBB12_537:                             ;   in Loop: Header=BB12_107 Depth=1
	s_or_b32 exec_lo, exec_lo, s30
	s_cbranch_execnz .LBB12_1388
; %bb.538:                              ;   in Loop: Header=BB12_107 Depth=1
	ds_load_b64 v[10:11], v0
	v_add_co_u32 v26, vcc_lo, v26, v54
	v_add_co_ci_u32_e32 v27, vcc_lo, 0, v27, vcc_lo
	s_mov_b32 s30, exec_lo
	s_waitcnt lgkmcnt(0)
	s_delay_alu instid0(VALU_DEP_1)
	v_cmpx_lt_u64_e64 v[10:11], v[26:27]
	s_cbranch_execz .LBB12_549
; %bb.539:                              ;   in Loop: Header=BB12_107 Depth=1
	s_mov_b32 s31, 0
	s_mov_b32 s36, 0
                                        ; implicit-def: $sgpr34
                                        ; implicit-def: $sgpr35
	s_branch .LBB12_541
.LBB12_540:                             ;   in Loop: Header=BB12_541 Depth=2
	s_or_b32 exec_lo, exec_lo, s38
	s_delay_alu instid0(SALU_CYCLE_1) | instskip(NEXT) | instid1(SALU_CYCLE_1)
	s_and_b32 vcc_lo, exec_lo, vcc_lo
	s_or_b32 s31, vcc_lo, s31
	s_and_not1_b32 vcc_lo, s34, exec_lo
	s_and_b32 s34, s35, exec_lo
	s_delay_alu instid0(SALU_CYCLE_1)
	s_or_b32 s34, vcc_lo, s34
	s_and_not1_b32 exec_lo, exec_lo, s31
	s_cbranch_execz .LBB12_547
.LBB12_541:                             ;   Parent Loop BB12_107 Depth=1
                                        ; =>  This Inner Loop Header: Depth=2
	s_add_i32 s36, s36, 1
                                        ; implicit-def: $sgpr38
	s_delay_alu instid0(SALU_CYCLE_1) | instskip(SKIP_1) | instid1(SALU_CYCLE_1)
	s_cmpk_lg_i32 s36, 0x2710
	s_cselect_b32 s37, -1, 0
	s_and_b32 vcc_lo, exec_lo, s37
	s_cbranch_vccz .LBB12_545
.LBB12_542:                             ;   in Loop: Header=BB12_541 Depth=2
	s_and_not1_b32 s35, s35, exec_lo
	s_and_b32 s38, s38, exec_lo
	s_mov_b32 vcc_lo, -1
	s_or_b32 s35, s35, s38
	s_and_saveexec_b32 s38, s37
	s_cbranch_execz .LBB12_540
; %bb.543:                              ;   in Loop: Header=BB12_541 Depth=2
	s_sleep 1
	s_cbranch_execnz .LBB12_1495
; %bb.544:                              ;   in Loop: Header=BB12_541 Depth=2
	ds_load_b64 v[10:11], v0
	s_and_not1_b32 s35, s35, exec_lo
	s_waitcnt lgkmcnt(0)
	v_cmp_ge_u64_e32 vcc_lo, v[10:11], v[26:27]
	s_or_not1_b32 vcc_lo, vcc_lo, exec_lo
	s_branch .LBB12_540
.LBB12_545:                             ;   in Loop: Header=BB12_541 Depth=2
	s_cbranch_execnz .LBB12_1509
; %bb.546:                              ;   in Loop: Header=BB12_541 Depth=2
	ds_load_b64 v[10:11], v0
	s_and_not1_b32 s37, s37, exec_lo
	s_mov_b32 s36, 0
	s_mov_b32 s38, -1
	s_waitcnt lgkmcnt(0)
	s_waitcnt_vscnt null, 0x0
	flat_load_b32 v1, v[10:11] glc
	s_waitcnt vmcnt(0) lgkmcnt(0)
	buffer_gl1_inv
	buffer_gl0_inv
	v_cmp_eq_u32_e32 vcc_lo, 0, v1
	s_and_b32 vcc_lo, vcc_lo, exec_lo
	s_delay_alu instid0(SALU_CYCLE_1)
	s_or_b32 s37, s37, vcc_lo
	s_branch .LBB12_542
.LBB12_547:                             ;   in Loop: Header=BB12_107 Depth=1
	s_or_b32 exec_lo, exec_lo, s31
	s_and_saveexec_b32 vcc_lo, s34
	s_delay_alu instid0(SALU_CYCLE_1)
	s_xor_b32 vcc_lo, exec_lo, vcc_lo
	s_cbranch_execz .LBB12_549
; %bb.548:                              ;   in Loop: Header=BB12_107 Depth=1
	ds_store_b32 v0, v99
	s_cbranch_execnz .LBB12_1577
.LBB12_549:                             ;   in Loop: Header=BB12_107 Depth=1
	s_or_b32 exec_lo, exec_lo, s30
	;;#ASMSTART
	s_wakeup
	;;#ASMEND
.LBB12_550:                             ;   in Loop: Header=BB12_107 Depth=1
	s_or_b32 exec_lo, exec_lo, vcc_hi
.LBB12_551:                             ;   in Loop: Header=BB12_107 Depth=1
	s_and_not1_saveexec_b32 s17, s17
	s_cbranch_execz .LBB12_553
; %bb.552:                              ;   in Loop: Header=BB12_107 Depth=1
	;;#ASMSTART
	s_waitcnt lgkmcnt(0) vmcnt(0)
	;;#ASMEND
	s_waitcnt lgkmcnt(0)
	s_waitcnt_vscnt null, 0x0
	s_barrier
.LBB12_553:                             ;   in Loop: Header=BB12_107 Depth=1
	s_or_b32 exec_lo, exec_lo, s17
.LBB12_554:                             ;   in Loop: Header=BB12_107 Depth=1
	s_delay_alu instid0(SALU_CYCLE_1) | instskip(SKIP_2) | instid1(VALU_DEP_1)
	s_or_b32 exec_lo, exec_lo, s16
	v_and_b32_e32 v1, 32, v48
	s_mov_b32 s16, exec_lo
	v_cmpx_ne_u32_e32 0, v1
	s_cbranch_execz .LBB12_556
; %bb.555:                              ;   in Loop: Header=BB12_107 Depth=1
	v_add_co_u32 v8, vcc_lo, v8, 1
	v_add_co_ci_u32_e32 v9, vcc_lo, 0, v9, vcc_lo
	s_waitcnt lgkmcnt(0)
	s_waitcnt_vscnt null, 0x0
	flat_store_b64 v[20:21], v[8:9]
.LBB12_556:                             ;   in Loop: Header=BB12_107 Depth=1
	s_or_b32 exec_lo, exec_lo, s16
	v_mov_b32_e32 v37, v36
.LBB12_557:                             ;   in Loop: Header=BB12_107 Depth=1
	s_or_b32 exec_lo, exec_lo, s28
	s_mov_b32 s16, s18
	s_and_saveexec_b32 s17, s14
	s_cbranch_execz .LBB12_632
; %bb.558:                              ;   in Loop: Header=BB12_107 Depth=1
	v_and_b32_e32 v1, 4, v48
	s_mov_b32 s28, -1
	s_mov_b32 s16, exec_lo
	s_delay_alu instid0(VALU_DEP_1)
	v_cmpx_ne_u32_e32 0, v1
	s_cbranch_execz .LBB12_572
; %bb.559:                              ;   in Loop: Header=BB12_107 Depth=1
	v_add_co_u32 v10, vcc_lo, v8, 1
	v_add_co_ci_u32_e32 v11, vcc_lo, 0, v9, vcc_lo
	v_mov_b32_e32 v1, 1
	s_mov_b32 s28, exec_lo
	s_delay_alu instid0(VALU_DEP_2)
	v_cmpx_lt_u64_e64 v[28:29], v[10:11]
	s_cbranch_execz .LBB12_571
; %bb.560:                              ;   in Loop: Header=BB12_107 Depth=1
	v_mov_b32_e32 v1, 0
	s_mov_b32 vcc_hi, 0
                                        ; implicit-def: $sgpr30
	s_branch .LBB12_564
.LBB12_561:                             ;   in Loop: Header=BB12_564 Depth=2
	s_or_b32 exec_lo, exec_lo, s36
	v_mov_b32_e32 v12, 0
	s_or_not1_b32 s35, s35, exec_lo
.LBB12_562:                             ;   in Loop: Header=BB12_564 Depth=2
	s_or_b32 exec_lo, exec_lo, s34
	s_delay_alu instid0(VALU_DEP_1) | instskip(SKIP_2) | instid1(SALU_CYCLE_1)
	v_mov_b32_e32 v1, v12
	s_and_not1_b32 vcc_lo, s30, exec_lo
	s_and_b32 s30, s35, exec_lo
	s_or_b32 s30, vcc_lo, s30
.LBB12_563:                             ;   in Loop: Header=BB12_564 Depth=2
	s_or_b32 exec_lo, exec_lo, s31
	s_waitcnt vmcnt(0) lgkmcnt(0)
	v_cmp_ge_u64_e32 vcc_lo, v[28:29], v[10:11]
	s_xor_b32 s31, s30, -1
	s_delay_alu instid0(SALU_CYCLE_1) | instskip(NEXT) | instid1(SALU_CYCLE_1)
	s_or_b32 vcc_lo, s31, vcc_lo
	s_and_b32 vcc_lo, exec_lo, vcc_lo
	s_delay_alu instid0(SALU_CYCLE_1) | instskip(NEXT) | instid1(SALU_CYCLE_1)
	s_or_b32 vcc_hi, vcc_lo, vcc_hi
	s_and_not1_b32 exec_lo, exec_lo, vcc_hi
	s_cbranch_execz .LBB12_570
.LBB12_564:                             ;   Parent Loop BB12_107 Depth=1
                                        ; =>  This Inner Loop Header: Depth=2
	s_sleep 1
	flat_load_b64 v[28:29], v[20:21] glc
	v_and_b32_e32 v12, 64, v48
	s_and_not1_b32 s30, s30, exec_lo
	s_mov_b32 s31, exec_lo
	s_delay_alu instid0(VALU_DEP_1)
	v_cmpx_eq_u32_e32 0, v12
	s_cbranch_execz .LBB12_563
; %bb.565:                              ;   in Loop: Header=BB12_564 Depth=2
	v_add_nc_u32_e32 v12, 1, v1
	s_mov_b32 s35, -1
	s_mov_b32 s34, exec_lo
	v_cmpx_lt_i32_e32 0x270e, v1
	s_cbranch_execz .LBB12_562
; %bb.566:                              ;   in Loop: Header=BB12_564 Depth=2
	s_cbranch_execnz .LBB12_1256
; %bb.567:                              ;   in Loop: Header=BB12_564 Depth=2
	ds_load_b64 v[12:13], v0
	s_mov_b32 s36, exec_lo
	s_waitcnt vmcnt(0) lgkmcnt(0)
	s_waitcnt_vscnt null, 0x0
	flat_load_b32 v1, v[12:13] glc
	s_waitcnt vmcnt(0) lgkmcnt(0)
	buffer_gl1_inv
	buffer_gl0_inv
	v_cmpx_ne_u32_e32 0, v1
	s_cbranch_execz .LBB12_561
; %bb.568:                              ;   in Loop: Header=BB12_564 Depth=2
	ds_store_b32 v0, v1
	s_cbranch_execnz .LBB12_1292
; %bb.569:                              ;   in Loop: Header=BB12_564 Depth=2
	v_or_b32_e32 v48, 64, v48
	s_xor_b32 s35, exec_lo, -1
	s_branch .LBB12_561
.LBB12_570:                             ;   in Loop: Header=BB12_107 Depth=1
	s_or_b32 exec_lo, exec_lo, vcc_hi
	v_and_b32_e32 v1, 4, v48
.LBB12_571:                             ;   in Loop: Header=BB12_107 Depth=1
	s_or_b32 exec_lo, exec_lo, s28
	s_delay_alu instid0(VALU_DEP_1)
	v_cmp_eq_u32_e32 vcc_lo, 0, v1
	;;#ASMSTART
	s_wakeup
	;;#ASMEND
	s_or_not1_b32 s28, vcc_lo, exec_lo
.LBB12_572:                             ;   in Loop: Header=BB12_107 Depth=1
	s_or_b32 exec_lo, exec_lo, s16
	s_xor_b32 s16, s28, -1
	s_delay_alu instid0(SALU_CYCLE_1)
	s_and_saveexec_b32 s28, s16
	s_cbranch_execz .LBB12_582
; %bb.573:                              ;   in Loop: Header=BB12_107 Depth=1
	v_and_b32_e32 v1, 0x100, v48
	s_mov_b32 s16, -1
                                        ; implicit-def: $vgpr10_vgpr11
	s_delay_alu instid0(VALU_DEP_1)
	v_cmp_ne_u32_e32 vcc_lo, 0, v1
	v_and_b32_e32 v1, 7, v8
	s_and_saveexec_b32 vcc_hi, vcc_lo
	s_cbranch_execz .LBB12_577
; %bb.574:                              ;   in Loop: Header=BB12_107 Depth=1
	s_delay_alu instid0(VALU_DEP_1) | instskip(SKIP_4) | instid1(VALU_DEP_1)
	v_mad_u64_u32 v[12:13], null, v1, 24, v[6:7]
	flat_load_b32 v10, v[12:13]
	s_waitcnt vmcnt(0) lgkmcnt(0)
	v_cmp_ne_u32_e32 vcc_lo, 1, v10
	v_cmp_eq_u32_e64 s16, 1, v10
                                        ; implicit-def: $vgpr10_vgpr11
	s_and_saveexec_b32 s30, s16
	s_cbranch_execz .LBB12_576
; %bb.575:                              ;   in Loop: Header=BB12_107 Depth=1
	flat_load_b32 v10, v[12:13] offset:4 glc
	s_waitcnt vmcnt(0) lgkmcnt(0)
	v_ashrrev_i32_e32 v11, 31, v10
.LBB12_576:                             ;   in Loop: Header=BB12_107 Depth=1
	s_or_b32 exec_lo, exec_lo, s30
	s_delay_alu instid0(SALU_CYCLE_1)
	s_or_not1_b32 s16, vcc_lo, exec_lo
.LBB12_577:                             ;   in Loop: Header=BB12_107 Depth=1
	s_or_b32 exec_lo, exec_lo, vcc_hi
	s_and_saveexec_b32 vcc_lo, s16
; %bb.578:                              ;   in Loop: Header=BB12_107 Depth=1
	v_mad_i64_i32 v[10:11], null, v1, v49, 0
; %bb.579:                              ;   in Loop: Header=BB12_107 Depth=1
	s_or_b32 exec_lo, exec_lo, vcc_lo
	s_delay_alu instid0(VALU_DEP_1) | instskip(SKIP_1) | instid1(VALU_DEP_3)
	v_add_co_u32 v10, vcc_lo, v22, v10
	v_and_b32_e32 v1, 0x2000, v48
	v_add_co_ci_u32_e32 v11, vcc_lo, v23, v11, vcc_lo
	s_mov_b32 s16, exec_lo
	ds_store_b64 v0, v[10:11] offset:720
	v_cmpx_ne_u32_e32 0, v1
	s_cbranch_execz .LBB12_581
; %bb.580:                              ;   in Loop: Header=BB12_107 Depth=1
	ds_load_b64 v[10:11], v0 offset:584
	s_waitcnt lgkmcnt(0)
	v_add_co_u32 v10, vcc_lo, v10, 1
	v_add_co_ci_u32_e32 v11, vcc_lo, 0, v11, vcc_lo
	ds_store_b64 v0, v[10:11] offset:584
.LBB12_581:                             ;   in Loop: Header=BB12_107 Depth=1
	s_or_b32 exec_lo, exec_lo, s16
	v_add_co_u32 v8, vcc_lo, v8, 1
	v_add_co_ci_u32_e32 v9, vcc_lo, 0, v9, vcc_lo
.LBB12_582:                             ;   in Loop: Header=BB12_107 Depth=1
	s_or_b32 exec_lo, exec_lo, s28
	s_and_saveexec_b32 s16, s3
	s_cbranch_execz .LBB12_604
; %bb.583:                              ;   in Loop: Header=BB12_107 Depth=1
	s_and_saveexec_b32 s28, s4
	s_delay_alu instid0(SALU_CYCLE_1)
	s_xor_b32 s28, exec_lo, s28
	s_cbranch_execz .LBB12_601
; %bb.584:                              ;   in Loop: Header=BB12_107 Depth=1
	s_and_saveexec_b32 vcc_hi, s5
	s_cbranch_execz .LBB12_600
; %bb.585:                              ;   in Loop: Header=BB12_107 Depth=1
	s_mov_b32 s31, exec_lo
	s_mov_b32 s30, exec_lo
	v_mbcnt_lo_u32_b32 v1, s31, 0
	s_waitcnt lgkmcnt(0)
	s_waitcnt_vscnt null, 0x0
	buffer_gl1_inv
	buffer_gl0_inv
	v_cmpx_eq_u32_e32 0, v1
	s_cbranch_execz .LBB12_587
; %bb.586:                              ;   in Loop: Header=BB12_107 Depth=1
	s_bcnt1_i32_b32 vcc_lo, s31
	s_delay_alu instid0(SALU_CYCLE_1)
	v_mov_b32_e32 v1, vcc_lo
	ds_add_u64 v0, v[1:2]
	s_cbranch_execnz .LBB12_1330
.LBB12_587:                             ;   in Loop: Header=BB12_107 Depth=1
	s_or_b32 exec_lo, exec_lo, s30
	s_cbranch_execnz .LBB12_1304
; %bb.588:                              ;   in Loop: Header=BB12_107 Depth=1
	ds_load_b64 v[10:11], v0
	v_add_co_u32 v26, vcc_lo, v26, v54
	v_add_co_ci_u32_e32 v27, vcc_lo, 0, v27, vcc_lo
	s_mov_b32 s30, exec_lo
	s_waitcnt lgkmcnt(0)
	s_delay_alu instid0(VALU_DEP_1)
	v_cmpx_lt_u64_e64 v[10:11], v[26:27]
	s_cbranch_execz .LBB12_599
; %bb.589:                              ;   in Loop: Header=BB12_107 Depth=1
	s_mov_b32 s31, 0
	s_mov_b32 s36, 0
                                        ; implicit-def: $sgpr34
                                        ; implicit-def: $sgpr35
	s_branch .LBB12_591
.LBB12_590:                             ;   in Loop: Header=BB12_591 Depth=2
	s_or_b32 exec_lo, exec_lo, s38
	s_delay_alu instid0(SALU_CYCLE_1) | instskip(NEXT) | instid1(SALU_CYCLE_1)
	s_and_b32 vcc_lo, exec_lo, vcc_lo
	s_or_b32 s31, vcc_lo, s31
	s_and_not1_b32 vcc_lo, s34, exec_lo
	s_and_b32 s34, s35, exec_lo
	s_delay_alu instid0(SALU_CYCLE_1)
	s_or_b32 s34, vcc_lo, s34
	s_and_not1_b32 exec_lo, exec_lo, s31
	s_cbranch_execz .LBB12_597
.LBB12_591:                             ;   Parent Loop BB12_107 Depth=1
                                        ; =>  This Inner Loop Header: Depth=2
	s_add_i32 s36, s36, 1
                                        ; implicit-def: $sgpr38
	s_delay_alu instid0(SALU_CYCLE_1) | instskip(SKIP_1) | instid1(SALU_CYCLE_1)
	s_cmpk_lg_i32 s36, 0x2710
	s_cselect_b32 s37, -1, 0
	s_and_b32 vcc_lo, exec_lo, s37
	s_cbranch_vccz .LBB12_595
.LBB12_592:                             ;   in Loop: Header=BB12_591 Depth=2
	s_and_not1_b32 s35, s35, exec_lo
	s_and_b32 s38, s38, exec_lo
	s_mov_b32 vcc_lo, -1
	s_or_b32 s35, s35, s38
	s_and_saveexec_b32 s38, s37
	s_cbranch_execz .LBB12_590
; %bb.593:                              ;   in Loop: Header=BB12_591 Depth=2
	s_sleep 1
	s_cbranch_execnz .LBB12_1376
; %bb.594:                              ;   in Loop: Header=BB12_591 Depth=2
	ds_load_b64 v[10:11], v0
	s_and_not1_b32 s35, s35, exec_lo
	s_waitcnt lgkmcnt(0)
	v_cmp_ge_u64_e32 vcc_lo, v[10:11], v[26:27]
	s_or_not1_b32 vcc_lo, vcc_lo, exec_lo
	s_branch .LBB12_590
.LBB12_595:                             ;   in Loop: Header=BB12_591 Depth=2
	s_cbranch_execnz .LBB12_1392
; %bb.596:                              ;   in Loop: Header=BB12_591 Depth=2
	ds_load_b64 v[10:11], v0
	s_and_not1_b32 s37, s37, exec_lo
	s_mov_b32 s36, 0
	s_mov_b32 s38, -1
	s_waitcnt lgkmcnt(0)
	flat_load_b32 v1, v[10:11] glc
	s_waitcnt vmcnt(0) lgkmcnt(0)
	buffer_gl1_inv
	buffer_gl0_inv
	v_cmp_eq_u32_e32 vcc_lo, 0, v1
	s_and_b32 vcc_lo, vcc_lo, exec_lo
	s_delay_alu instid0(SALU_CYCLE_1)
	s_or_b32 s37, s37, vcc_lo
	s_branch .LBB12_592
.LBB12_597:                             ;   in Loop: Header=BB12_107 Depth=1
	s_or_b32 exec_lo, exec_lo, s31
	s_and_saveexec_b32 vcc_lo, s34
	s_delay_alu instid0(SALU_CYCLE_1)
	s_xor_b32 vcc_lo, exec_lo, vcc_lo
	s_cbranch_execz .LBB12_599
; %bb.598:                              ;   in Loop: Header=BB12_107 Depth=1
	ds_store_b32 v0, v99
	s_cbranch_execnz .LBB12_1555
.LBB12_599:                             ;   in Loop: Header=BB12_107 Depth=1
	s_or_b32 exec_lo, exec_lo, s30
	;;#ASMSTART
	s_wakeup
	;;#ASMEND
.LBB12_600:                             ;   in Loop: Header=BB12_107 Depth=1
	s_or_b32 exec_lo, exec_lo, vcc_hi
.LBB12_601:                             ;   in Loop: Header=BB12_107 Depth=1
	s_and_not1_saveexec_b32 s28, s28
	s_cbranch_execz .LBB12_603
; %bb.602:                              ;   in Loop: Header=BB12_107 Depth=1
	s_waitcnt lgkmcnt(0)
	s_waitcnt_vscnt null, 0x0
	buffer_gl1_inv
	buffer_gl0_inv
	s_barrier
.LBB12_603:                             ;   in Loop: Header=BB12_107 Depth=1
	s_or_b32 exec_lo, exec_lo, s28
.LBB12_604:                             ;   in Loop: Header=BB12_107 Depth=1
	s_delay_alu instid0(SALU_CYCLE_1) | instskip(SKIP_1) | instid1(SALU_CYCLE_1)
	s_or_b32 exec_lo, exec_lo, s16
	s_and_saveexec_b32 s16, s11
	s_xor_b32 s28, exec_lo, s16
	s_cbranch_execz .LBB12_609
; %bb.605:                              ;   in Loop: Header=BB12_107 Depth=1
	s_cbranch_execnz .LBB12_1254
; %bb.606:                              ;   in Loop: Header=BB12_107 Depth=1
	ds_load_b32 v1, v0
	v_sub_nc_u32_e32 v10, v39, v37
	s_delay_alu instid0(VALU_DEP_1) | instskip(NEXT) | instid1(VALU_DEP_1)
	v_min_i32_e32 v10, v36, v10
	v_cmp_lt_i32_e32 vcc_lo, 0, v10
	s_waitcnt lgkmcnt(0)
	v_readfirstlane_b32 s16, v1
	v_and_b32_e32 v1, 16, v48
	s_delay_alu instid0(VALU_DEP_2) | instskip(NEXT) | instid1(VALU_DEP_1)
	s_cmp_eq_u32 s16, 0
	v_cmp_ne_u32_e64 s16, 0, v1
	s_cselect_b32 vcc_hi, -1, 0
	s_delay_alu instid0(SALU_CYCLE_1)
	s_and_b32 vcc_lo, vcc_lo, vcc_hi
	s_delay_alu instid0(VALU_DEP_1) | instid1(SALU_CYCLE_1)
	s_and_b32 vcc_lo, s16, vcc_lo
	s_delay_alu instid0(SALU_CYCLE_1)
	s_and_saveexec_b32 s16, vcc_lo
	s_cbranch_execz .LBB12_608
; %bb.607:                              ;   in Loop: Header=BB12_107 Depth=1
	s_waitcnt_vscnt null, 0x0
	buffer_gl1_inv
	buffer_gl0_inv
.LBB12_608:                             ;   in Loop: Header=BB12_107 Depth=1
	s_or_b32 exec_lo, exec_lo, s16
.LBB12_609:                             ;   in Loop: Header=BB12_107 Depth=1
	s_and_not1_saveexec_b32 s16, s28
	s_cbranch_execz .LBB12_631
; %bb.610:                              ;   in Loop: Header=BB12_107 Depth=1
	s_and_saveexec_b32 s28, s4
	s_delay_alu instid0(SALU_CYCLE_1)
	s_xor_b32 s28, exec_lo, s28
	s_cbranch_execz .LBB12_628
; %bb.611:                              ;   in Loop: Header=BB12_107 Depth=1
	s_and_saveexec_b32 vcc_hi, s5
	s_cbranch_execz .LBB12_627
; %bb.612:                              ;   in Loop: Header=BB12_107 Depth=1
	s_mov_b32 s31, exec_lo
	s_mov_b32 s30, exec_lo
	v_mbcnt_lo_u32_b32 v1, s31, 0
	;;#ASMSTART
	s_waitcnt lgkmcnt(0) vmcnt(0)
	;;#ASMEND
	s_delay_alu instid0(VALU_DEP_1)
	v_cmpx_eq_u32_e32 0, v1
	s_cbranch_execz .LBB12_614
; %bb.613:                              ;   in Loop: Header=BB12_107 Depth=1
	s_bcnt1_i32_b32 vcc_lo, s31
	s_delay_alu instid0(SALU_CYCLE_1)
	v_mov_b32_e32 v1, vcc_lo
	ds_add_u64 v0, v[1:2]
	s_cbranch_execnz .LBB12_1348
.LBB12_614:                             ;   in Loop: Header=BB12_107 Depth=1
	s_or_b32 exec_lo, exec_lo, s30
	s_cbranch_execnz .LBB12_1328
; %bb.615:                              ;   in Loop: Header=BB12_107 Depth=1
	ds_load_b64 v[10:11], v0
	v_add_co_u32 v26, vcc_lo, v26, v54
	v_add_co_ci_u32_e32 v27, vcc_lo, 0, v27, vcc_lo
	s_mov_b32 s30, exec_lo
	s_waitcnt lgkmcnt(0)
	s_delay_alu instid0(VALU_DEP_1)
	v_cmpx_lt_u64_e64 v[10:11], v[26:27]
	s_cbranch_execz .LBB12_626
; %bb.616:                              ;   in Loop: Header=BB12_107 Depth=1
	s_mov_b32 s31, 0
	s_mov_b32 s36, 0
                                        ; implicit-def: $sgpr34
                                        ; implicit-def: $sgpr35
	s_branch .LBB12_618
.LBB12_617:                             ;   in Loop: Header=BB12_618 Depth=2
	s_or_b32 exec_lo, exec_lo, s38
	s_delay_alu instid0(SALU_CYCLE_1) | instskip(NEXT) | instid1(SALU_CYCLE_1)
	s_and_b32 vcc_lo, exec_lo, vcc_lo
	s_or_b32 s31, vcc_lo, s31
	s_and_not1_b32 vcc_lo, s34, exec_lo
	s_and_b32 s34, s35, exec_lo
	s_delay_alu instid0(SALU_CYCLE_1)
	s_or_b32 s34, vcc_lo, s34
	s_and_not1_b32 exec_lo, exec_lo, s31
	s_cbranch_execz .LBB12_624
.LBB12_618:                             ;   Parent Loop BB12_107 Depth=1
                                        ; =>  This Inner Loop Header: Depth=2
	s_add_i32 s36, s36, 1
                                        ; implicit-def: $sgpr38
	s_delay_alu instid0(SALU_CYCLE_1) | instskip(SKIP_1) | instid1(SALU_CYCLE_1)
	s_cmpk_lg_i32 s36, 0x2710
	s_cselect_b32 s37, -1, 0
	s_and_b32 vcc_lo, exec_lo, s37
	s_cbranch_vccz .LBB12_622
.LBB12_619:                             ;   in Loop: Header=BB12_618 Depth=2
	s_and_not1_b32 s35, s35, exec_lo
	s_and_b32 s38, s38, exec_lo
	s_mov_b32 vcc_lo, -1
	s_or_b32 s35, s35, s38
	s_and_saveexec_b32 s38, s37
	s_cbranch_execz .LBB12_617
; %bb.620:                              ;   in Loop: Header=BB12_618 Depth=2
	s_sleep 1
	s_cbranch_execnz .LBB12_1416
; %bb.621:                              ;   in Loop: Header=BB12_618 Depth=2
	ds_load_b64 v[10:11], v0
	s_and_not1_b32 s35, s35, exec_lo
	s_waitcnt lgkmcnt(0)
	v_cmp_ge_u64_e32 vcc_lo, v[10:11], v[26:27]
	s_or_not1_b32 vcc_lo, vcc_lo, exec_lo
	s_branch .LBB12_617
.LBB12_622:                             ;   in Loop: Header=BB12_618 Depth=2
	s_cbranch_execnz .LBB12_1449
; %bb.623:                              ;   in Loop: Header=BB12_618 Depth=2
	ds_load_b64 v[10:11], v0
	s_and_not1_b32 s37, s37, exec_lo
	s_mov_b32 s36, 0
	s_mov_b32 s38, -1
	s_waitcnt lgkmcnt(0)
	s_waitcnt_vscnt null, 0x0
	flat_load_b32 v1, v[10:11] glc
	s_waitcnt vmcnt(0) lgkmcnt(0)
	buffer_gl1_inv
	buffer_gl0_inv
	v_cmp_eq_u32_e32 vcc_lo, 0, v1
	s_and_b32 vcc_lo, vcc_lo, exec_lo
	s_delay_alu instid0(SALU_CYCLE_1)
	s_or_b32 s37, s37, vcc_lo
	s_branch .LBB12_619
.LBB12_624:                             ;   in Loop: Header=BB12_107 Depth=1
	s_or_b32 exec_lo, exec_lo, s31
	s_and_saveexec_b32 vcc_lo, s34
	s_delay_alu instid0(SALU_CYCLE_1)
	s_xor_b32 vcc_lo, exec_lo, vcc_lo
	s_cbranch_execz .LBB12_626
; %bb.625:                              ;   in Loop: Header=BB12_107 Depth=1
	ds_store_b32 v0, v99
	s_cbranch_execnz .LBB12_1569
.LBB12_626:                             ;   in Loop: Header=BB12_107 Depth=1
	s_or_b32 exec_lo, exec_lo, s30
	;;#ASMSTART
	s_wakeup
	;;#ASMEND
.LBB12_627:                             ;   in Loop: Header=BB12_107 Depth=1
	s_or_b32 exec_lo, exec_lo, vcc_hi
.LBB12_628:                             ;   in Loop: Header=BB12_107 Depth=1
	s_and_not1_saveexec_b32 s28, s28
	s_cbranch_execz .LBB12_630
; %bb.629:                              ;   in Loop: Header=BB12_107 Depth=1
	;;#ASMSTART
	s_waitcnt lgkmcnt(0) vmcnt(0)
	;;#ASMEND
	s_waitcnt lgkmcnt(0)
	s_waitcnt_vscnt null, 0x0
	s_barrier
.LBB12_630:                             ;   in Loop: Header=BB12_107 Depth=1
	s_or_b32 exec_lo, exec_lo, s28
.LBB12_631:                             ;   in Loop: Header=BB12_107 Depth=1
	s_delay_alu instid0(SALU_CYCLE_1) | instskip(SKIP_2) | instid1(VALU_DEP_1)
	s_or_b32 exec_lo, exec_lo, s16
	v_and_b32_e32 v1, 32, v48
	s_and_not1_b32 s16, s18, exec_lo
	v_cmp_ne_u32_e32 vcc_lo, 0, v1
	s_and_b32 s28, vcc_lo, exec_lo
	s_delay_alu instid0(SALU_CYCLE_1)
	s_or_b32 s16, s16, s28
.LBB12_632:                             ;   in Loop: Header=BB12_107 Depth=1
	s_or_b32 exec_lo, exec_lo, s17
	s_delay_alu instid0(SALU_CYCLE_1) | instskip(SKIP_1) | instid1(SALU_CYCLE_1)
	s_and_not1_b32 s17, s18, exec_lo
	s_and_b32 s16, s16, exec_lo
	s_or_b32 s18, s17, s16
.LBB12_633:                             ;   in Loop: Header=BB12_107 Depth=1
	s_or_b32 exec_lo, exec_lo, s19
	s_delay_alu instid0(SALU_CYCLE_1)
	s_and_b32 s28, s18, exec_lo
                                        ; implicit-def: $vgpr36
                                        ; implicit-def: $vgpr39
                                        ; implicit-def: $vgpr1
                                        ; implicit-def: $vgpr10
.LBB12_634:                             ;   in Loop: Header=BB12_107 Depth=1
	s_and_not1_saveexec_b32 s29, s29
	s_cbranch_execz .LBB12_1157
; %bb.635:                              ;   in Loop: Header=BB12_107 Depth=1
	s_mov_b32 s18, 0
	s_mov_b32 s17, s28
	s_and_saveexec_b32 s16, s26
	s_delay_alu instid0(SALU_CYCLE_1)
	s_xor_b32 vcc_hi, exec_lo, s16
	s_cbranch_execz .LBB12_915
; %bb.636:                              ;   in Loop: Header=BB12_107 Depth=1
	v_mov_b32_e32 v12, 0
	s_and_saveexec_b32 s17, s15
	s_cbranch_execz .LBB12_837
; %bb.637:                              ;   in Loop: Header=BB12_107 Depth=1
	s_and_saveexec_b32 s18, s0
	s_cbranch_execz .LBB12_640
; %bb.638:                              ;   in Loop: Header=BB12_107 Depth=1
	s_cbranch_execnz .LBB12_1173
; %bb.639:                              ;   in Loop: Header=BB12_107 Depth=1
	ds_load_2addr_b64 v[100:103], v0 offset1:1
	ds_load_b64 v[11:12], v0
	s_waitcnt lgkmcnt(1)
	v_add_co_u32 v37, vcc_lo, v100, v1
	v_add_co_ci_u32_e32 v38, vcc_lo, v101, v10, vcc_lo
	s_waitcnt lgkmcnt(0)
	v_add_co_u32 v13, vcc_lo, v11, v1
	v_add_co_ci_u32_e32 v100, vcc_lo, v12, v10, vcc_lo
	v_cmp_ne_u64_e32 vcc_lo, 0, v[11:12]
	v_add_co_u32 v11, s16, v102, v1
	s_delay_alu instid0(VALU_DEP_1) | instskip(NEXT) | instid1(VALU_DEP_4)
	v_add_co_ci_u32_e64 v12, s16, v103, v10, s16
	v_dual_cndmask_b32 v101, 0, v100 :: v_dual_cndmask_b32 v100, 0, v13
	ds_store_b64 v0, v[37:38]
	ds_store_b64 v0, v[11:12]
	;; [unrolled: 1-line block ×3, first 2 shown]
.LBB12_640:                             ;   in Loop: Header=BB12_107 Depth=1
	s_or_b32 exec_lo, exec_lo, s18
	v_and_b32_e32 v1, 8, v48
	s_mov_b32 s18, -1
	s_mov_b32 s16, exec_lo
	s_delay_alu instid0(VALU_DEP_1)
	v_cmpx_ne_u32_e32 0, v1
                                        ; implicit-def: $vgpr89 : SGPR spill to VGPR lane
	v_writelane_b32 v89, s17, 0
	s_cbranch_execz .LBB12_654
; %bb.641:                              ;   in Loop: Header=BB12_107 Depth=1
	v_add_co_u32 v12, vcc_lo, v28, 8
	v_add_co_ci_u32_e32 v13, vcc_lo, 0, v29, vcc_lo
	v_add_co_u32 v10, vcc_lo, v8, 1
	v_add_co_ci_u32_e32 v11, vcc_lo, 0, v9, vcc_lo
	v_mov_b32_e32 v1, 1
	s_mov_b32 s17, exec_lo
	s_delay_alu instid0(VALU_DEP_2)
	v_cmpx_lt_u64_e64 v[12:13], v[10:11]
	s_cbranch_execz .LBB12_653
; %bb.642:                              ;   in Loop: Header=BB12_107 Depth=1
	v_mov_b32_e32 v1, 0
	s_mov_b32 s18, 0
                                        ; implicit-def: $sgpr19
	s_branch .LBB12_646
.LBB12_643:                             ;   in Loop: Header=BB12_646 Depth=2
	s_or_b32 exec_lo, exec_lo, s35
	v_mov_b32_e32 v12, 0
	s_or_not1_b32 s34, s34, exec_lo
.LBB12_644:                             ;   in Loop: Header=BB12_646 Depth=2
	s_or_b32 exec_lo, exec_lo, s31
	s_delay_alu instid0(VALU_DEP_1) | instskip(SKIP_2) | instid1(SALU_CYCLE_1)
	v_mov_b32_e32 v1, v12
	s_and_not1_b32 s19, s19, exec_lo
	s_and_b32 vcc_lo, s34, exec_lo
	s_or_b32 s19, s19, vcc_lo
.LBB12_645:                             ;   in Loop: Header=BB12_646 Depth=2
	s_or_b32 exec_lo, exec_lo, s30
	s_waitcnt vmcnt(0) lgkmcnt(0)
	v_add_co_u32 v12, vcc_lo, v28, 8
	v_add_co_ci_u32_e32 v13, vcc_lo, 0, v29, vcc_lo
	s_xor_b32 s30, s19, -1
	s_delay_alu instid0(VALU_DEP_1) | instskip(SKIP_1) | instid1(SALU_CYCLE_1)
	v_cmp_ge_u64_e32 vcc_lo, v[12:13], v[10:11]
	s_or_b32 vcc_lo, s30, vcc_lo
	s_and_b32 vcc_lo, exec_lo, vcc_lo
	s_delay_alu instid0(SALU_CYCLE_1) | instskip(NEXT) | instid1(SALU_CYCLE_1)
	s_or_b32 s18, vcc_lo, s18
	s_and_not1_b32 exec_lo, exec_lo, s18
	s_cbranch_execz .LBB12_652
.LBB12_646:                             ;   Parent Loop BB12_107 Depth=1
                                        ; =>  This Inner Loop Header: Depth=2
	s_sleep 1
	flat_load_b64 v[28:29], v[20:21] glc
	v_and_b32_e32 v12, 64, v48
	s_and_not1_b32 s19, s19, exec_lo
	s_mov_b32 s30, exec_lo
	s_delay_alu instid0(VALU_DEP_1)
	v_cmpx_eq_u32_e32 0, v12
	s_cbranch_execz .LBB12_645
; %bb.647:                              ;   in Loop: Header=BB12_646 Depth=2
	v_add_nc_u32_e32 v12, 1, v1
	s_mov_b32 s34, -1
	s_mov_b32 s31, exec_lo
	v_cmpx_lt_i32_e32 0x270e, v1
	s_cbranch_execz .LBB12_644
; %bb.648:                              ;   in Loop: Header=BB12_646 Depth=2
	s_cbranch_execnz .LBB12_1225
; %bb.649:                              ;   in Loop: Header=BB12_646 Depth=2
	ds_load_b64 v[12:13], v0
	s_mov_b32 s35, exec_lo
	s_waitcnt vmcnt(0) lgkmcnt(0)
	s_waitcnt_vscnt null, 0x0
	flat_load_b32 v1, v[12:13] glc
	s_waitcnt vmcnt(0) lgkmcnt(0)
	buffer_gl1_inv
	buffer_gl0_inv
	v_cmpx_ne_u32_e32 0, v1
	s_cbranch_execz .LBB12_643
; %bb.650:                              ;   in Loop: Header=BB12_646 Depth=2
	ds_store_b32 v0, v1
	s_cbranch_execnz .LBB12_1268
; %bb.651:                              ;   in Loop: Header=BB12_646 Depth=2
	v_or_b32_e32 v48, 64, v48
	s_xor_b32 s34, exec_lo, -1
	s_branch .LBB12_643
.LBB12_652:                             ;   in Loop: Header=BB12_107 Depth=1
	s_or_b32 exec_lo, exec_lo, s18
	v_and_b32_e32 v1, 8, v48
.LBB12_653:                             ;   in Loop: Header=BB12_107 Depth=1
	s_or_b32 exec_lo, exec_lo, s17
	s_delay_alu instid0(VALU_DEP_1)
	v_cmp_eq_u32_e32 vcc_lo, 0, v1
	;;#ASMSTART
	s_wakeup
	;;#ASMEND
	s_or_not1_b32 s18, vcc_lo, exec_lo
.LBB12_654:                             ;   in Loop: Header=BB12_107 Depth=1
	s_or_b32 exec_lo, exec_lo, s16
	v_min_i32_e32 v36, v36, v39
	s_xor_b32 s16, s18, -1
	s_delay_alu instid0(SALU_CYCLE_1)
	s_and_saveexec_b32 s17, s16
	s_cbranch_execz .LBB12_664
; %bb.655:                              ;   in Loop: Header=BB12_107 Depth=1
	v_and_b32_e32 v1, 0x100, v48
	s_mov_b32 s16, -1
                                        ; implicit-def: $vgpr10_vgpr11
	s_delay_alu instid0(VALU_DEP_1)
	v_cmp_ne_u32_e32 vcc_lo, 0, v1
	v_and_b32_e32 v1, 7, v8
	s_and_saveexec_b32 s18, vcc_lo
	s_cbranch_execz .LBB12_659
; %bb.656:                              ;   in Loop: Header=BB12_107 Depth=1
	s_delay_alu instid0(VALU_DEP_1)
	v_mad_u64_u32 v[12:13], null, v1, 24, v[6:7]
	v_ashrrev_i32_e32 v37, 31, v36
	flat_load_b32 v10, v[12:13]
	flat_store_b64 v[12:13], v[36:37] offset:8
	s_waitcnt vmcnt(0) lgkmcnt(1)
	v_cmp_ne_u32_e32 vcc_lo, 1, v10
	v_cmp_eq_u32_e64 s16, 1, v10
                                        ; implicit-def: $vgpr10_vgpr11
	s_delay_alu instid0(VALU_DEP_1)
	s_and_saveexec_b32 s19, s16
	s_cbranch_execz .LBB12_658
; %bb.657:                              ;   in Loop: Header=BB12_107 Depth=1
	flat_load_b32 v10, v[12:13] offset:4 glc
	s_waitcnt vmcnt(0) lgkmcnt(0)
	v_ashrrev_i32_e32 v11, 31, v10
.LBB12_658:                             ;   in Loop: Header=BB12_107 Depth=1
	s_or_b32 exec_lo, exec_lo, s19
	s_delay_alu instid0(SALU_CYCLE_1)
	s_or_not1_b32 s16, vcc_lo, exec_lo
.LBB12_659:                             ;   in Loop: Header=BB12_107 Depth=1
	s_or_b32 exec_lo, exec_lo, s18
	s_and_saveexec_b32 s18, s16
; %bb.660:                              ;   in Loop: Header=BB12_107 Depth=1
	v_mad_i64_i32 v[10:11], null, v1, v49, 0
; %bb.661:                              ;   in Loop: Header=BB12_107 Depth=1
	s_or_b32 exec_lo, exec_lo, s18
	s_delay_alu instid0(VALU_DEP_1) | instskip(SKIP_1) | instid1(VALU_DEP_3)
	v_add_co_u32 v10, vcc_lo, v22, v10
	v_and_b32_e32 v1, 0x2000, v48
	v_add_co_ci_u32_e32 v11, vcc_lo, v23, v11, vcc_lo
	s_mov_b32 s16, exec_lo
	ds_store_b64 v0, v[10:11] offset:792
	v_cmpx_ne_u32_e32 0, v1
	s_cbranch_execz .LBB12_663
; %bb.662:                              ;   in Loop: Header=BB12_107 Depth=1
	ds_load_b64 v[10:11], v0 offset:584
	s_waitcnt lgkmcnt(0)
	v_add_co_u32 v10, vcc_lo, v10, 1
	v_add_co_ci_u32_e32 v11, vcc_lo, 0, v11, vcc_lo
	ds_store_b64 v0, v[10:11] offset:584
.LBB12_663:                             ;   in Loop: Header=BB12_107 Depth=1
	s_or_b32 exec_lo, exec_lo, s16
	v_add_co_u32 v8, vcc_lo, v8, 1
	v_add_co_ci_u32_e32 v9, vcc_lo, 0, v9, vcc_lo
.LBB12_664:                             ;   in Loop: Header=BB12_107 Depth=1
	s_or_b32 exec_lo, exec_lo, s17
	s_and_saveexec_b32 s16, s3
	s_cbranch_execz .LBB12_686
; %bb.665:                              ;   in Loop: Header=BB12_107 Depth=1
	s_and_saveexec_b32 s17, s4
	s_delay_alu instid0(SALU_CYCLE_1)
	s_xor_b32 s17, exec_lo, s17
	s_cbranch_execz .LBB12_683
; %bb.666:                              ;   in Loop: Header=BB12_107 Depth=1
	s_and_saveexec_b32 s18, s5
	s_cbranch_execz .LBB12_682
; %bb.667:                              ;   in Loop: Header=BB12_107 Depth=1
	s_mov_b32 s30, exec_lo
	s_mov_b32 s19, exec_lo
	v_mbcnt_lo_u32_b32 v1, s30, 0
	s_waitcnt lgkmcnt(0)
	s_waitcnt_vscnt null, 0x0
	buffer_gl1_inv
	buffer_gl0_inv
	v_cmpx_eq_u32_e32 0, v1
	s_cbranch_execz .LBB12_669
; %bb.668:                              ;   in Loop: Header=BB12_107 Depth=1
	s_bcnt1_i32_b32 vcc_lo, s30
	s_delay_alu instid0(SALU_CYCLE_1)
	v_mov_b32_e32 v1, vcc_lo
	ds_add_u64 v0, v[1:2]
	s_cbranch_execnz .LBB12_1302
.LBB12_669:                             ;   in Loop: Header=BB12_107 Depth=1
	s_or_b32 exec_lo, exec_lo, s19
	s_cbranch_execnz .LBB12_1282
; %bb.670:                              ;   in Loop: Header=BB12_107 Depth=1
	ds_load_b64 v[10:11], v0
	v_add_co_u32 v26, vcc_lo, v26, v54
	v_add_co_ci_u32_e32 v27, vcc_lo, 0, v27, vcc_lo
	s_mov_b32 s19, exec_lo
	s_waitcnt lgkmcnt(0)
	s_delay_alu instid0(VALU_DEP_1)
	v_cmpx_lt_u64_e64 v[10:11], v[26:27]
	s_cbranch_execz .LBB12_681
; %bb.671:                              ;   in Loop: Header=BB12_107 Depth=1
	s_mov_b32 s30, 0
	s_mov_b32 s35, 0
                                        ; implicit-def: $sgpr31
                                        ; implicit-def: $sgpr34
	s_branch .LBB12_673
.LBB12_672:                             ;   in Loop: Header=BB12_673 Depth=2
	s_or_b32 exec_lo, exec_lo, s37
	s_delay_alu instid0(SALU_CYCLE_1) | instskip(NEXT) | instid1(SALU_CYCLE_1)
	s_and_b32 vcc_lo, exec_lo, vcc_lo
	s_or_b32 s30, vcc_lo, s30
	s_and_not1_b32 vcc_lo, s31, exec_lo
	s_and_b32 s31, s34, exec_lo
	s_delay_alu instid0(SALU_CYCLE_1)
	s_or_b32 s31, vcc_lo, s31
	s_and_not1_b32 exec_lo, exec_lo, s30
	s_cbranch_execz .LBB12_679
.LBB12_673:                             ;   Parent Loop BB12_107 Depth=1
                                        ; =>  This Inner Loop Header: Depth=2
	s_add_i32 s35, s35, 1
                                        ; implicit-def: $sgpr37
	s_delay_alu instid0(SALU_CYCLE_1) | instskip(SKIP_1) | instid1(SALU_CYCLE_1)
	s_cmpk_lg_i32 s35, 0x2710
	s_cselect_b32 s36, -1, 0
	s_and_b32 vcc_lo, exec_lo, s36
	s_cbranch_vccz .LBB12_677
.LBB12_674:                             ;   in Loop: Header=BB12_673 Depth=2
	s_and_not1_b32 s34, s34, exec_lo
	s_and_b32 s37, s37, exec_lo
	s_mov_b32 vcc_lo, -1
	s_or_b32 s34, s34, s37
	s_and_saveexec_b32 s37, s36
	s_cbranch_execz .LBB12_672
; %bb.675:                              ;   in Loop: Header=BB12_673 Depth=2
	s_sleep 1
	s_cbranch_execnz .LBB12_1354
; %bb.676:                              ;   in Loop: Header=BB12_673 Depth=2
	ds_load_b64 v[10:11], v0
	s_and_not1_b32 s34, s34, exec_lo
	s_waitcnt lgkmcnt(0)
	v_cmp_ge_u64_e32 vcc_lo, v[10:11], v[26:27]
	s_or_not1_b32 vcc_lo, vcc_lo, exec_lo
	s_branch .LBB12_672
.LBB12_677:                             ;   in Loop: Header=BB12_673 Depth=2
	s_cbranch_execnz .LBB12_1362
; %bb.678:                              ;   in Loop: Header=BB12_673 Depth=2
	ds_load_b64 v[10:11], v0
	s_and_not1_b32 s36, s36, exec_lo
	s_mov_b32 s35, 0
	s_mov_b32 s37, -1
	s_waitcnt lgkmcnt(0)
	flat_load_b32 v1, v[10:11] glc
	s_waitcnt vmcnt(0) lgkmcnt(0)
	buffer_gl1_inv
	buffer_gl0_inv
	v_cmp_eq_u32_e32 vcc_lo, 0, v1
	s_and_b32 vcc_lo, vcc_lo, exec_lo
	s_delay_alu instid0(SALU_CYCLE_1)
	s_or_b32 s36, s36, vcc_lo
	s_branch .LBB12_674
.LBB12_679:                             ;   in Loop: Header=BB12_107 Depth=1
	s_or_b32 exec_lo, exec_lo, s30
	s_and_saveexec_b32 vcc_lo, s31
	s_delay_alu instid0(SALU_CYCLE_1)
	s_xor_b32 vcc_lo, exec_lo, vcc_lo
	s_cbranch_execz .LBB12_681
; %bb.680:                              ;   in Loop: Header=BB12_107 Depth=1
	ds_store_b32 v0, v99
	s_cbranch_execnz .LBB12_1545
.LBB12_681:                             ;   in Loop: Header=BB12_107 Depth=1
	s_or_b32 exec_lo, exec_lo, s19
	;;#ASMSTART
	s_wakeup
	;;#ASMEND
.LBB12_682:                             ;   in Loop: Header=BB12_107 Depth=1
	s_or_b32 exec_lo, exec_lo, s18
.LBB12_683:                             ;   in Loop: Header=BB12_107 Depth=1
	s_and_not1_saveexec_b32 s17, s17
	s_cbranch_execz .LBB12_685
; %bb.684:                              ;   in Loop: Header=BB12_107 Depth=1
	s_waitcnt lgkmcnt(0)
	s_waitcnt_vscnt null, 0x0
	buffer_gl1_inv
	buffer_gl0_inv
	s_barrier
.LBB12_685:                             ;   in Loop: Header=BB12_107 Depth=1
	s_or_b32 exec_lo, exec_lo, s17
.LBB12_686:                             ;   in Loop: Header=BB12_107 Depth=1
	s_delay_alu instid0(SALU_CYCLE_1)
	s_or_b32 exec_lo, exec_lo, s16
	s_cbranch_execnz .LBB12_1171
; %bb.687:                              ;   in Loop: Header=BB12_107 Depth=1
	ds_load_b32 v10, v0
	v_and_b32_e32 v1, 0x4000, v48
	s_delay_alu instid0(VALU_DEP_1) | instskip(SKIP_1) | instid1(SALU_CYCLE_1)
	v_cmp_ne_u32_e32 vcc_lo, 0, v1
	s_and_b32 s17, s27, vcc_lo
	s_and_saveexec_b32 s16, s17
	s_cbranch_execz .LBB12_709
; %bb.688:                              ;   in Loop: Header=BB12_107 Depth=1
	s_and_saveexec_b32 s17, s4
	s_delay_alu instid0(SALU_CYCLE_1)
	s_xor_b32 s17, exec_lo, s17
	s_cbranch_execz .LBB12_706
; %bb.689:                              ;   in Loop: Header=BB12_107 Depth=1
	s_and_saveexec_b32 s18, s5
	s_cbranch_execz .LBB12_705
; %bb.690:                              ;   in Loop: Header=BB12_107 Depth=1
	s_mov_b32 s30, exec_lo
	s_mov_b32 s19, exec_lo
	v_mbcnt_lo_u32_b32 v1, s30, 0
	s_waitcnt lgkmcnt(0)
	s_waitcnt_vscnt null, 0x0
	buffer_gl1_inv
	buffer_gl0_inv
	v_cmpx_eq_u32_e32 0, v1
	s_cbranch_execz .LBB12_692
; %bb.691:                              ;   in Loop: Header=BB12_107 Depth=1
	s_bcnt1_i32_b32 vcc_lo, s30
	s_delay_alu instid0(SALU_CYCLE_1)
	v_mov_b32_e32 v1, vcc_lo
	ds_add_u64 v0, v[1:2]
	s_cbranch_execnz .LBB12_1346
.LBB12_692:                             ;   in Loop: Header=BB12_107 Depth=1
	s_or_b32 exec_lo, exec_lo, s19
	s_cbranch_execnz .LBB12_1326
; %bb.693:                              ;   in Loop: Header=BB12_107 Depth=1
	ds_load_b64 v[11:12], v0
	v_add_co_u32 v26, vcc_lo, v26, v54
	v_add_co_ci_u32_e32 v27, vcc_lo, 0, v27, vcc_lo
	s_mov_b32 s19, exec_lo
	s_waitcnt lgkmcnt(0)
	s_delay_alu instid0(VALU_DEP_1)
	v_cmpx_lt_u64_e64 v[11:12], v[26:27]
	s_cbranch_execz .LBB12_704
; %bb.694:                              ;   in Loop: Header=BB12_107 Depth=1
	s_mov_b32 s30, 0
	s_mov_b32 s35, 0
                                        ; implicit-def: $sgpr31
                                        ; implicit-def: $sgpr34
	s_branch .LBB12_696
.LBB12_695:                             ;   in Loop: Header=BB12_696 Depth=2
	s_or_b32 exec_lo, exec_lo, s37
	s_delay_alu instid0(SALU_CYCLE_1) | instskip(NEXT) | instid1(SALU_CYCLE_1)
	s_and_b32 vcc_lo, exec_lo, vcc_lo
	s_or_b32 s30, vcc_lo, s30
	s_and_not1_b32 vcc_lo, s31, exec_lo
	s_and_b32 s31, s34, exec_lo
	s_delay_alu instid0(SALU_CYCLE_1)
	s_or_b32 s31, vcc_lo, s31
	s_and_not1_b32 exec_lo, exec_lo, s30
	s_cbranch_execz .LBB12_702
.LBB12_696:                             ;   Parent Loop BB12_107 Depth=1
                                        ; =>  This Inner Loop Header: Depth=2
	s_add_i32 s35, s35, 1
                                        ; implicit-def: $sgpr37
	s_delay_alu instid0(SALU_CYCLE_1) | instskip(SKIP_1) | instid1(SALU_CYCLE_1)
	s_cmpk_lg_i32 s35, 0x2710
	s_cselect_b32 s36, -1, 0
	s_and_b32 vcc_lo, exec_lo, s36
	s_cbranch_vccz .LBB12_700
.LBB12_697:                             ;   in Loop: Header=BB12_696 Depth=2
	s_and_not1_b32 s34, s34, exec_lo
	s_and_b32 s37, s37, exec_lo
	s_mov_b32 vcc_lo, -1
	s_or_b32 s34, s34, s37
	s_and_saveexec_b32 s37, s36
	s_cbranch_execz .LBB12_695
; %bb.698:                              ;   in Loop: Header=BB12_696 Depth=2
	s_sleep 1
	s_cbranch_execnz .LBB12_1414
; %bb.699:                              ;   in Loop: Header=BB12_696 Depth=2
	ds_load_b64 v[11:12], v0
	s_and_not1_b32 s34, s34, exec_lo
	s_waitcnt lgkmcnt(0)
	v_cmp_ge_u64_e32 vcc_lo, v[11:12], v[26:27]
	s_or_not1_b32 vcc_lo, vcc_lo, exec_lo
	s_branch .LBB12_695
.LBB12_700:                             ;   in Loop: Header=BB12_696 Depth=2
	s_cbranch_execnz .LBB12_1447
; %bb.701:                              ;   in Loop: Header=BB12_696 Depth=2
	ds_load_b64 v[11:12], v0
	s_and_not1_b32 s36, s36, exec_lo
	s_mov_b32 s35, 0
	s_mov_b32 s37, -1
	s_waitcnt lgkmcnt(0)
	flat_load_b32 v1, v[11:12] glc
	s_waitcnt vmcnt(0) lgkmcnt(0)
	buffer_gl1_inv
	buffer_gl0_inv
	v_cmp_eq_u32_e32 vcc_lo, 0, v1
	s_and_b32 vcc_lo, vcc_lo, exec_lo
	s_delay_alu instid0(SALU_CYCLE_1)
	s_or_b32 s36, s36, vcc_lo
	s_branch .LBB12_697
.LBB12_702:                             ;   in Loop: Header=BB12_107 Depth=1
	s_or_b32 exec_lo, exec_lo, s30
	s_and_saveexec_b32 vcc_lo, s31
	s_delay_alu instid0(SALU_CYCLE_1)
	s_xor_b32 vcc_lo, exec_lo, vcc_lo
	s_cbranch_execz .LBB12_704
; %bb.703:                              ;   in Loop: Header=BB12_107 Depth=1
	ds_store_b32 v0, v99
	s_cbranch_execnz .LBB12_1567
.LBB12_704:                             ;   in Loop: Header=BB12_107 Depth=1
	s_or_b32 exec_lo, exec_lo, s19
	;;#ASMSTART
	s_wakeup
	;;#ASMEND
.LBB12_705:                             ;   in Loop: Header=BB12_107 Depth=1
	s_or_b32 exec_lo, exec_lo, s18
.LBB12_706:                             ;   in Loop: Header=BB12_107 Depth=1
	s_and_not1_saveexec_b32 s17, s17
	s_cbranch_execz .LBB12_708
; %bb.707:                              ;   in Loop: Header=BB12_107 Depth=1
	s_waitcnt lgkmcnt(0)
	s_waitcnt_vscnt null, 0x0
	buffer_gl1_inv
	buffer_gl0_inv
	s_barrier
.LBB12_708:                             ;   in Loop: Header=BB12_107 Depth=1
	s_or_b32 exec_lo, exec_lo, s17
.LBB12_709:                             ;   in Loop: Header=BB12_107 Depth=1
	s_delay_alu instid0(SALU_CYCLE_1)
	s_or_b32 exec_lo, exec_lo, s16
	s_cbranch_execnz .LBB12_1231
; %bb.710:                              ;   in Loop: Header=BB12_107 Depth=1
	ds_load_b64 v[11:12], v0
	s_waitcnt lgkmcnt(0)
	v_cmp_eq_u64_e32 vcc_lo, 0, v[11:12]
	s_or_b32 s16, vcc_lo, vcc_lo
	s_delay_alu instid0(SALU_CYCLE_1)
	s_and_b32 vcc_lo, exec_lo, s16
	s_mov_b32 s16, 0
	s_cbranch_vccnz .LBB12_784
; %bb.711:                              ;   in Loop: Header=BB12_107 Depth=1
	v_cmp_eq_u32_e32 vcc_lo, 0, v10
	s_cbranch_execnz .LBB12_1276
; %bb.712:                              ;   in Loop: Header=BB12_107 Depth=1
	ds_load_b64 v[10:11], v0
	v_cndmask_b32_e32 v1, 0, v36, vcc_lo
	s_waitcnt lgkmcnt(0)
	v_cmp_ne_u64_e64 s16, 0, v[10:11]
	s_delay_alu instid0(VALU_DEP_1)
	s_and_b32 vcc_lo, exec_lo, s16
	s_cbranch_vccz .LBB12_749
; %bb.713:                              ;   in Loop: Header=BB12_107 Depth=1
	s_mov_b32 s16, -1
	s_and_saveexec_b32 s17, s10
	s_cbranch_execz .LBB12_715
; %bb.714:                              ;   in Loop: Header=BB12_107 Depth=1
	ds_load_b32 v10, v0 offset:720
	s_waitcnt lgkmcnt(0)
	v_and_b32_e32 v10, 15, v10
	s_delay_alu instid0(VALU_DEP_1)
	v_cmp_eq_u32_e32 vcc_lo, 0, v10
	s_or_not1_b32 s16, vcc_lo, exec_lo
.LBB12_715:                             ;   in Loop: Header=BB12_107 Depth=1
	s_or_b32 exec_lo, exec_lo, s17
	s_and_saveexec_b32 s17, s7
	s_cbranch_execz .LBB12_717
; %bb.716:                              ;   in Loop: Header=BB12_107 Depth=1
	ds_load_b32 v10, v0 offset:784
	s_waitcnt lgkmcnt(0)
	v_and_b32_e32 v10, 15, v10
	s_delay_alu instid0(VALU_DEP_1) | instskip(SKIP_3) | instid1(SALU_CYCLE_1)
	v_cmp_eq_u32_e32 vcc_lo, 0, v10
	s_and_b32 s18, s16, vcc_lo
	s_and_not1_b32 s16, s16, exec_lo
	s_and_b32 s18, s18, exec_lo
	s_or_b32 s16, s16, s18
.LBB12_717:                             ;   in Loop: Header=BB12_107 Depth=1
	s_or_b32 exec_lo, exec_lo, s17
	s_xor_b32 s16, s16, -1
	v_dual_mov_b32 v100, 0 :: v_dual_mov_b32 v101, v1
	v_cndmask_b32_e64 v10, 0, 1, s16
	;;#ASMSTART
	;;#ASMEND
	s_delay_alu instid0(VALU_DEP_1)
	v_cmp_ne_u32_e32 vcc_lo, 0, v10
	v_mov_b32_e32 v102, v0
	v_mov_b32_e32 v10, v51
	s_mov_b32 s16, -1
	s_cbranch_vccnz .LBB12_735
; %bb.718:                              ;   in Loop: Header=BB12_107 Depth=1
	v_ashrrev_i32_e32 v10, 31, v1
	s_mov_b32 s17, exec_lo
	s_delay_alu instid0(VALU_DEP_1) | instskip(NEXT) | instid1(VALU_DEP_1)
	v_lshrrev_b32_e32 v10, 21, v10
	v_add_nc_u32_e32 v10, v1, v10
	s_delay_alu instid0(VALU_DEP_1) | instskip(NEXT) | instid1(VALU_DEP_1)
	v_ashrrev_i32_e32 v100, 11, v10
	v_sub_nc_u32_e32 v112, v100, v51
	s_delay_alu instid0(VALU_DEP_1)
	v_cmpx_lt_i32_e32 0, v112
	s_cbranch_execz .LBB12_723
; %bb.719:                              ;   in Loop: Header=BB12_107 Depth=1
	s_cbranch_execnz .LBB12_1479
; %bb.720:                              ;   in Loop: Header=BB12_107 Depth=1
	ds_load_b64 v[10:11], v0
	ds_load_b128 v[113:116], v0
	s_mov_b32 s18, 0
	s_waitcnt lgkmcnt(1)
	v_add_co_u32 v10, vcc_lo, v10, v55
	v_add_co_ci_u32_e32 v11, vcc_lo, v11, v65, vcc_lo
	s_waitcnt lgkmcnt(0)
	v_add_co_u32 v12, vcc_lo, v113, v55
	v_add_co_ci_u32_e32 v13, vcc_lo, v114, v65, vcc_lo
	v_add_co_u32 v37, vcc_lo, v115, v55
	v_add_co_ci_u32_e32 v38, vcc_lo, v116, v65, vcc_lo
	s_set_inst_prefetch_distance 0x1
.LBB12_721:                             ;   Parent Loop BB12_107 Depth=1
                                        ; =>  This Inner Loop Header: Depth=2
	s_clause 0x3
	global_load_b128 v[113:116], v[10:11], off slc dlc
	global_load_b128 v[128:131], v[10:11], off offset:512 slc dlc
	global_load_b128 v[132:135], v[10:11], off offset:1024 slc dlc
	global_load_b128 v[144:147], v[10:11], off offset:1536 slc dlc
	v_sub_nc_u32_e32 v112, v112, v54
	v_add_co_u32 v10, vcc_lo, v10, v67
	v_add_co_ci_u32_e32 v11, vcc_lo, v11, v68, vcc_lo
	s_delay_alu instid0(VALU_DEP_3)
	v_cmp_gt_i32_e32 vcc_lo, 1, v112
	s_waitcnt vmcnt(3)
	global_store_b128 v[12:13], v[113:116], off glc slc dlc
	s_waitcnt vmcnt(2)
	global_store_b128 v[12:13], v[128:131], off offset:512 glc slc dlc
	s_waitcnt vmcnt(1)
	global_store_b128 v[12:13], v[132:135], off offset:1024 glc slc dlc
	;; [unrolled: 2-line block ×3, first 2 shown]
	s_clause 0x3
	global_store_b128 v[37:38], v[113:116], off glc slc dlc
	global_store_b128 v[37:38], v[128:131], off offset:512 glc slc dlc
	global_store_b128 v[37:38], v[132:135], off offset:1024 glc slc dlc
	;; [unrolled: 1-line block ×3, first 2 shown]
	v_add_co_u32 v12, s16, v12, v67
	s_delay_alu instid0(VALU_DEP_1) | instskip(SKIP_1) | instid1(VALU_DEP_1)
	v_add_co_ci_u32_e64 v13, s16, v13, v68, s16
	v_add_co_u32 v37, s16, v37, v67
	v_add_co_ci_u32_e64 v38, s16, v38, v68, s16
	s_or_b32 s18, vcc_lo, s18
	s_delay_alu instid0(SALU_CYCLE_1)
	s_and_not1_b32 exec_lo, exec_lo, s18
	s_cbranch_execnz .LBB12_721
; %bb.722:                              ;   in Loop: Header=BB12_107 Depth=1
	s_set_inst_prefetch_distance 0x2
	s_or_b32 exec_lo, exec_lo, s18
.LBB12_723:                             ;   in Loop: Header=BB12_107 Depth=1
	s_delay_alu instid0(SALU_CYCLE_1) | instskip(SKIP_3) | instid1(VALU_DEP_1)
	s_or_b32 exec_lo, exec_lo, s17
	v_dual_mov_b32 v100, 0 :: v_dual_lshlrev_b32 v103, 11, v100
	s_mov_b32 s16, 0
	s_mov_b32 s30, exec_lo
                                        ; implicit-def: $vgpr101
                                        ; implicit-def: $vgpr102
                                        ; implicit-def: $vgpr10
	v_cmpx_ne_u32_e64 v1, v103
	s_cbranch_execz .LBB12_734
; %bb.724:                              ;   in Loop: Header=BB12_107 Depth=1
	v_lshlrev_b32_e32 v10, 5, v112
	v_sub_nc_u32_e32 v12, v1, v103
	s_mov_b32 s31, exec_lo
	s_delay_alu instid0(VALU_DEP_2) | instskip(NEXT) | instid1(VALU_DEP_2)
	v_sub_nc_u32_e32 v10, v53, v10
	v_ashrrev_i32_e32 v13, 31, v12
	s_delay_alu instid0(VALU_DEP_2) | instskip(NEXT) | instid1(VALU_DEP_2)
	v_ashrrev_i32_e32 v11, 31, v10
	v_lshrrev_b32_e32 v13, 23, v13
	s_delay_alu instid0(VALU_DEP_2) | instskip(NEXT) | instid1(VALU_DEP_2)
	v_lshrrev_b32_e32 v11, 27, v11
	v_add_nc_u32_e32 v13, v12, v13
	s_delay_alu instid0(VALU_DEP_2) | instskip(NEXT) | instid1(VALU_DEP_2)
	v_add_nc_u32_e32 v11, v10, v11
	v_and_b32_e32 v112, 0xfffffe00, v13
	v_ashrrev_i32_e32 v13, 9, v13
	s_delay_alu instid0(VALU_DEP_3) | instskip(NEXT) | instid1(VALU_DEP_3)
	v_and_b32_e32 v37, 0xffffffe0, v11
	v_sub_nc_u32_e32 v114, v12, v112
	v_ashrrev_i32_e32 v11, 5, v11
	s_delay_alu instid0(VALU_DEP_3) | instskip(NEXT) | instid1(VALU_DEP_3)
	v_sub_nc_u32_e32 v113, v10, v37
	v_cmp_lt_i32_e64 s16, 15, v114
	s_delay_alu instid0(VALU_DEP_2) | instskip(NEXT) | instid1(VALU_DEP_2)
	v_lshlrev_b32_e32 v10, 4, v113
	v_add_co_ci_u32_e64 v13, vcc_lo, 0, v13, s16
	s_delay_alu instid0(VALU_DEP_2) | instskip(NEXT) | instid1(VALU_DEP_2)
	v_lshl_add_u32 v10, v11, 9, v10
	v_sub_nc_u32_e32 v115, v13, v11
	s_delay_alu instid0(VALU_DEP_2) | instskip(NEXT) | instid1(VALU_DEP_1)
	v_sub_nc_u32_e32 v100, v12, v10
	v_cmpx_lt_i32_e32 15, v100
	s_cbranch_execz .LBB12_731
; %bb.725:                              ;   in Loop: Header=BB12_107 Depth=1
	s_cbranch_execnz .LBB12_1531
; %bb.726:                              ;   in Loop: Header=BB12_107 Depth=1
	ds_load_b64 v[11:12], v0
	ds_load_b128 v[116:119], v0
	v_add_nc_u32_e32 v10, v10, v103
	s_mov_b32 s34, 0
	s_delay_alu instid0(VALU_DEP_1) | instskip(SKIP_2) | instid1(VALU_DEP_2)
	v_ashrrev_i32_e32 v13, 31, v10
	s_waitcnt lgkmcnt(1)
	v_add_co_u32 v37, vcc_lo, v11, v10
	v_add_co_ci_u32_e32 v38, vcc_lo, v12, v13, vcc_lo
	s_waitcnt lgkmcnt(0)
	v_add_co_u32 v101, vcc_lo, v116, v10
	v_add_co_ci_u32_e32 v102, vcc_lo, v117, v13, vcc_lo
	v_add_co_u32 v116, vcc_lo, v118, v10
	v_add_co_ci_u32_e32 v117, vcc_lo, v119, v13, vcc_lo
.LBB12_727:                             ;   Parent Loop BB12_107 Depth=1
                                        ; =>  This Loop Header: Depth=2
                                        ;       Child Loop BB12_728 Depth 3
	global_load_b128 v[10:13], v[37:38], off slc dlc
	s_mov_b64 s[18:19], 0
	s_mov_b32 s17, -1
.LBB12_728:                             ;   Parent Loop BB12_107 Depth=1
                                        ;     Parent Loop BB12_727 Depth=2
                                        ; =>    This Inner Loop Header: Depth=3
	s_cmp_eq_u32 s18, 0
	v_cndmask_b32_e64 v128, 0, 1, s17
	s_cselect_b32 vcc_lo, -1, 0
	s_cmp_eq_u32 s18, 1
	s_cselect_b32 s17, -1, 0
	s_delay_alu instid0(SALU_CYCLE_1) | instskip(SKIP_1) | instid1(VALU_DEP_2)
	v_cndmask_b32_e64 v118, v101, v116, s17
	v_cndmask_b32_e64 v119, v102, v117, s17
	v_add_co_u32 v129, s18, 0x200, v118
	s_delay_alu instid0(VALU_DEP_1) | instskip(SKIP_1) | instid1(VALU_DEP_3)
	v_add_co_ci_u32_e64 v130, s18, 0, v119, s18
	v_cmp_ne_u32_e64 s18, 1, v128
	v_cndmask_b32_e64 v116, v116, v129, s17
	v_cndmask_b32_e32 v101, v101, v129, vcc_lo
	s_delay_alu instid0(VALU_DEP_4)
	v_cndmask_b32_e64 v117, v117, v130, s17
	v_cndmask_b32_e32 v102, v102, v130, vcc_lo
	s_mov_b32 s17, 0
	s_and_b32 vcc_lo, exec_lo, s18
	s_mov_b64 s[18:19], 1
	s_waitcnt vmcnt(0)
	global_store_b128 v[118:119], v[10:13], off glc slc dlc
	s_cbranch_vccz .LBB12_728
; %bb.729:                              ;   in Loop: Header=BB12_727 Depth=2
	v_add_co_u32 v101, vcc_lo, v101, v66
	v_sub_nc_u32_e32 v100, v100, v64
	v_add_co_ci_u32_e32 v102, vcc_lo, v102, v69, vcc_lo
	v_add_co_u32 v116, vcc_lo, v116, v66
	v_add_co_ci_u32_e32 v117, vcc_lo, v117, v69, vcc_lo
	s_delay_alu instid0(VALU_DEP_4) | instskip(SKIP_1) | instid1(VALU_DEP_1)
	v_cmp_gt_i32_e32 vcc_lo, 16, v100
	v_add_co_u32 v37, s17, v71, v37
	v_add_co_ci_u32_e64 v38, s17, v80, v38, s17
	v_sub_nc_u32_e32 v115, v115, v54
	s_or_b32 s34, vcc_lo, s34
	s_delay_alu instid0(SALU_CYCLE_1)
	s_and_not1_b32 exec_lo, exec_lo, s34
	s_cbranch_execnz .LBB12_727
; %bb.730:                              ;   in Loop: Header=BB12_107 Depth=1
	s_or_b32 exec_lo, exec_lo, s34
.LBB12_731:                             ;   in Loop: Header=BB12_107 Depth=1
	s_delay_alu instid0(SALU_CYCLE_1) | instskip(SKIP_3) | instid1(VALU_DEP_1)
	s_or_b32 exec_lo, exec_lo, s31
	v_dual_mov_b32 v100, 0 :: v_dual_and_b32 v11, 15, v1
	s_mov_b32 s17, 0
	s_mov_b32 s18, exec_lo
                                        ; implicit-def: $vgpr102
                                        ; implicit-def: $vgpr10
	v_cndmask_b32_e64 v101, v114, v11, s16
	s_delay_alu instid0(VALU_DEP_1)
	v_cmpx_ne_u32_e32 0, v101
	s_cbranch_execz .LBB12_733
; %bb.732:                              ;   in Loop: Header=BB12_107 Depth=1
	v_cmp_lt_i32_e32 vcc_lo, 0, v115
	v_sub_nc_u32_e32 v11, v114, v11
	s_mov_b32 s17, exec_lo
	v_cndmask_b32_e32 v10, 0, v54, vcc_lo
	s_delay_alu instid0(VALU_DEP_2) | instskip(NEXT) | instid1(VALU_DEP_2)
	v_cndmask_b32_e64 v11, 0, v11, s16
	v_sub_nc_u32_e32 v10, v10, v115
	s_delay_alu instid0(VALU_DEP_2) | instskip(NEXT) | instid1(VALU_DEP_2)
	v_add3_u32 v100, v112, v103, v11
	v_lshl_add_u32 v102, v10, 5, v113
	s_delay_alu instid0(VALU_DEP_1) | instskip(NEXT) | instid1(VALU_DEP_1)
	v_ashrrev_i32_e32 v10, 31, v102
	v_lshrrev_b32_e32 v10, 27, v10
	s_delay_alu instid0(VALU_DEP_1) | instskip(NEXT) | instid1(VALU_DEP_1)
	v_add_nc_u32_e32 v10, v102, v10
	v_ashrrev_i32_e32 v10, 5, v10
.LBB12_733:                             ;   in Loop: Header=BB12_107 Depth=1
	s_or_b32 exec_lo, exec_lo, s18
	s_delay_alu instid0(SALU_CYCLE_1)
	s_and_b32 s16, s17, exec_lo
.LBB12_734:                             ;   in Loop: Header=BB12_107 Depth=1
	s_or_b32 exec_lo, exec_lo, s30
.LBB12_735:                             ;   in Loop: Header=BB12_107 Depth=1
	s_and_saveexec_b32 s30, s16
	s_cbranch_execz .LBB12_748
; %bb.736:                              ;   in Loop: Header=BB12_107 Depth=1
	v_ashrrev_i32_e32 v11, 31, v101
	s_mov_b32 s17, exec_lo
	s_delay_alu instid0(VALU_DEP_1) | instskip(NEXT) | instid1(VALU_DEP_1)
	v_lshrrev_b32_e32 v11, 22, v11
	v_add_nc_u32_e32 v11, v101, v11
	s_delay_alu instid0(VALU_DEP_1) | instskip(NEXT) | instid1(VALU_DEP_1)
	v_ashrrev_i32_e32 v112, 10, v11
	v_sub_nc_u32_e32 v103, v112, v10
	s_delay_alu instid0(VALU_DEP_1)
	v_cmpx_lt_i32_e32 0, v103
	s_cbranch_execz .LBB12_741
; %bb.737:                              ;   in Loop: Header=BB12_107 Depth=1
	s_cbranch_execnz .LBB12_1469
; %bb.738:                              ;   in Loop: Header=BB12_107 Depth=1
	v_ashrrev_i32_e32 v11, 31, v102
	v_lshlrev_b32_e32 v10, 10, v10
	s_mov_b32 s18, 0
	ds_load_b128 v[113:116], v0
	v_lshrrev_b32_e32 v11, 27, v11
	s_delay_alu instid0(VALU_DEP_1) | instskip(SKIP_2) | instid1(VALU_DEP_1)
	v_add_nc_u32_e32 v13, v102, v11
	ds_load_b64 v[11:12], v0
	v_and_b32_e32 v13, 0xffffffe0, v13
	v_sub_nc_u32_e32 v13, v102, v13
	s_delay_alu instid0(VALU_DEP_1) | instskip(NEXT) | instid1(VALU_DEP_1)
	v_add3_u32 v37, v100, v13, v10
	v_ashrrev_i32_e32 v38, 31, v37
	s_waitcnt lgkmcnt(0)
	v_add_co_u32 v117, vcc_lo, 0x3e0, v11
	v_add_co_ci_u32_e32 v118, vcc_lo, 0, v12, vcc_lo
	v_add_co_u32 v10, vcc_lo, v113, v37
	v_add_co_ci_u32_e32 v11, vcc_lo, v114, v38, vcc_lo
	;; [unrolled: 2-line block ×4, first 2 shown]
.LBB12_739:                             ;   Parent Loop BB12_107 Depth=1
                                        ; =>  This Inner Loop Header: Depth=2
	s_delay_alu instid0(VALU_DEP_2) | instskip(NEXT) | instid1(VALU_DEP_2)
	v_add_co_u32 v113, vcc_lo, 0xfffffc20, v37
	v_add_co_ci_u32_e32 v114, vcc_lo, -1, v38, vcc_lo
	v_add_co_u32 v115, vcc_lo, 0xfffffc40, v37
	v_add_co_ci_u32_e32 v116, vcc_lo, -1, v38, vcc_lo
	;; [unrolled: 2-line block ×31, first 2 shown]
	flat_load_u8 v119, v[37:38] slc dlc
	flat_load_u8 v113, v[113:114] slc dlc
	;; [unrolled: 1-line block ×32, first 2 shown]
	v_sub_nc_u32_e32 v103, v103, v54
	v_add_co_u32 v37, vcc_lo, v37, v82
	v_add_co_ci_u32_e32 v38, vcc_lo, v38, v83, vcc_lo
	s_delay_alu instid0(VALU_DEP_3)
	v_cmp_gt_i32_e32 vcc_lo, 1, v103
	s_waitcnt vmcnt(30) lgkmcnt(30)
	flat_store_b8 v[10:11], v113 glc slc dlc
	s_waitcnt vmcnt(29) lgkmcnt(30)
	flat_store_b8 v[10:11], v114 offset:32 glc slc dlc
	s_waitcnt vmcnt(28) lgkmcnt(30)
	flat_store_b8 v[10:11], v115 offset:64 glc slc dlc
	;; [unrolled: 2-line block ×29, first 2 shown]
	s_waitcnt vmcnt(0) lgkmcnt(30)
	s_clause 0x1
	flat_store_b8 v[10:11], v176 offset:960 glc slc dlc
	flat_store_b8 v[10:11], v119 offset:992 glc slc dlc
	s_clause 0x1f
	flat_store_b8 v[12:13], v113 glc slc dlc
	flat_store_b8 v[12:13], v114 offset:32 glc slc dlc
	flat_store_b8 v[12:13], v115 offset:64 glc slc dlc
	flat_store_b8 v[12:13], v116 offset:96 glc slc dlc
	flat_store_b8 v[12:13], v117 offset:128 glc slc dlc
	flat_store_b8 v[12:13], v118 offset:160 glc slc dlc
	flat_store_b8 v[12:13], v128 offset:192 glc slc dlc
	flat_store_b8 v[12:13], v129 offset:224 glc slc dlc
	flat_store_b8 v[12:13], v130 offset:256 glc slc dlc
	flat_store_b8 v[12:13], v131 offset:288 glc slc dlc
	flat_store_b8 v[12:13], v132 offset:320 glc slc dlc
	flat_store_b8 v[12:13], v133 offset:352 glc slc dlc
	flat_store_b8 v[12:13], v134 offset:384 glc slc dlc
	flat_store_b8 v[12:13], v135 offset:416 glc slc dlc
	flat_store_b8 v[12:13], v144 offset:448 glc slc dlc
	flat_store_b8 v[12:13], v145 offset:480 glc slc dlc
	flat_store_b8 v[12:13], v146 offset:512 glc slc dlc
	flat_store_b8 v[12:13], v147 offset:544 glc slc dlc
	flat_store_b8 v[12:13], v148 offset:576 glc slc dlc
	flat_store_b8 v[12:13], v149 offset:608 glc slc dlc
	flat_store_b8 v[12:13], v150 offset:640 glc slc dlc
	flat_store_b8 v[12:13], v151 offset:672 glc slc dlc
	flat_store_b8 v[12:13], v160 offset:704 glc slc dlc
	flat_store_b8 v[12:13], v161 offset:736 glc slc dlc
	flat_store_b8 v[12:13], v162 offset:768 glc slc dlc
	flat_store_b8 v[12:13], v163 offset:800 glc slc dlc
	flat_store_b8 v[12:13], v164 offset:832 glc slc dlc
	flat_store_b8 v[12:13], v165 offset:864 glc slc dlc
	flat_store_b8 v[12:13], v166 offset:896 glc slc dlc
	flat_store_b8 v[12:13], v167 offset:928 glc slc dlc
	flat_store_b8 v[12:13], v176 offset:960 glc slc dlc
	flat_store_b8 v[12:13], v119 offset:992 glc slc dlc
	v_add_co_u32 v10, s16, v10, v82
	s_delay_alu instid0(VALU_DEP_1) | instskip(SKIP_1) | instid1(VALU_DEP_1)
	v_add_co_ci_u32_e64 v11, s16, v11, v83, s16
	v_add_co_u32 v12, s16, v12, v82
	v_add_co_ci_u32_e64 v13, s16, v13, v83, s16
	s_or_b32 s18, vcc_lo, s18
	s_delay_alu instid0(SALU_CYCLE_1)
	s_and_not1_b32 exec_lo, exec_lo, s18
	s_cbranch_execnz .LBB12_739
; %bb.740:                              ;   in Loop: Header=BB12_107 Depth=1
	s_or_b32 exec_lo, exec_lo, s18
.LBB12_741:                             ;   in Loop: Header=BB12_107 Depth=1
	s_delay_alu instid0(SALU_CYCLE_1) | instskip(SKIP_1) | instid1(VALU_DEP_1)
	s_or_b32 exec_lo, exec_lo, s17
	v_lshlrev_b32_e32 v10, 10, v112
	v_cmp_ne_u32_e32 vcc_lo, v101, v10
	s_and_b32 exec_lo, exec_lo, vcc_lo
	s_cbranch_execz .LBB12_748
; %bb.742:                              ;   in Loop: Header=BB12_107 Depth=1
	v_ashrrev_i32_e32 v11, 31, v102
	v_lshlrev_b32_e32 v12, 5, v103
	s_delay_alu instid0(VALU_DEP_2) | instskip(NEXT) | instid1(VALU_DEP_1)
	v_lshrrev_b32_e32 v11, 27, v11
	v_add_nc_u32_e32 v11, v102, v11
	s_delay_alu instid0(VALU_DEP_1) | instskip(NEXT) | instid1(VALU_DEP_1)
	v_and_b32_e32 v11, 0xffffffe0, v11
	v_sub_nc_u32_e32 v11, v102, v11
	s_delay_alu instid0(VALU_DEP_1) | instskip(NEXT) | instid1(VALU_DEP_1)
	v_sub_nc_u32_e32 v11, v11, v12
	v_add_nc_u32_e32 v10, v10, v11
	s_delay_alu instid0(VALU_DEP_1) | instskip(NEXT) | instid1(VALU_DEP_1)
	v_sub_nc_u32_e32 v12, v101, v10
	v_cmp_lt_i32_e32 vcc_lo, 0, v12
	s_and_b32 exec_lo, exec_lo, vcc_lo
	s_cbranch_execz .LBB12_748
; %bb.743:                              ;   in Loop: Header=BB12_107 Depth=1
	s_cbranch_execnz .LBB12_1519
; %bb.744:                              ;   in Loop: Header=BB12_107 Depth=1
	ds_load_b64 v[37:38], v0
	ds_load_b128 v[112:115], v0
	v_add_nc_u32_e32 v100, v10, v100
	s_mov_b32 s31, 0
	s_delay_alu instid0(VALU_DEP_1) | instskip(SKIP_2) | instid1(VALU_DEP_2)
	v_ashrrev_i32_e32 v101, 31, v100
	s_waitcnt lgkmcnt(1)
	v_add_co_u32 v10, vcc_lo, v37, v100
	v_add_co_ci_u32_e32 v11, vcc_lo, v38, v101, vcc_lo
	s_waitcnt lgkmcnt(0)
	v_add_co_u32 v13, vcc_lo, v112, v100
	v_add_co_ci_u32_e32 v37, vcc_lo, v113, v101, vcc_lo
	v_add_co_u32 v38, vcc_lo, v114, v100
	v_add_co_ci_u32_e32 v100, vcc_lo, v115, v101, vcc_lo
	s_set_inst_prefetch_distance 0x1
.LBB12_745:                             ;   Parent Loop BB12_107 Depth=1
                                        ; =>  This Loop Header: Depth=2
                                        ;       Child Loop BB12_746 Depth 3
	flat_load_u8 v101, v[10:11] slc dlc
	s_mov_b64 s[18:19], 0
	s_mov_b32 s34, -1
.LBB12_746:                             ;   Parent Loop BB12_107 Depth=1
                                        ;     Parent Loop BB12_745 Depth=2
                                        ; =>    This Inner Loop Header: Depth=3
	s_cmp_eq_u32 s18, 1
	s_cselect_b32 vcc_lo, -1, 0
	s_cmp_eq_u32 s18, 0
	v_cndmask_b32_e32 v102, v13, v38, vcc_lo
	v_cndmask_b32_e32 v103, v37, v100, vcc_lo
	s_mov_b64 s[18:19], 1
	s_delay_alu instid0(VALU_DEP_2) | instskip(NEXT) | instid1(VALU_DEP_1)
	v_add_co_u32 v112, s16, v102, 32
	v_add_co_ci_u32_e64 v113, s16, 0, v103, s16
	s_cselect_b32 s16, -1, 0
	s_delay_alu instid0(VALU_DEP_2) | instskip(SKIP_1) | instid1(VALU_DEP_3)
	v_cndmask_b32_e32 v38, v38, v112, vcc_lo
	v_cndmask_b32_e64 v13, v13, v112, s16
	v_cndmask_b32_e32 v100, v100, v113, vcc_lo
	v_cndmask_b32_e64 v37, v37, v113, s16
	s_and_b32 s17, exec_lo, s34
	s_mov_b32 s34, 0
	s_mov_b32 vcc_lo, s17
	s_waitcnt vmcnt(0) lgkmcnt(0)
	flat_store_b8 v[102:103], v101 glc slc dlc
	s_cbranch_vccnz .LBB12_746
; %bb.747:                              ;   in Loop: Header=BB12_745 Depth=2
	v_add_co_u32 v13, vcc_lo, v13, v81
	v_sub_nc_u32_e32 v12, v12, v70
	v_add_co_ci_u32_e32 v37, vcc_lo, v37, v84, vcc_lo
	v_add_co_u32 v38, vcc_lo, v38, v81
	v_add_co_ci_u32_e32 v100, vcc_lo, v100, v84, vcc_lo
	s_delay_alu instid0(VALU_DEP_4) | instskip(SKIP_1) | instid1(VALU_DEP_1)
	v_cmp_gt_i32_e32 vcc_lo, 1, v12
	v_add_co_u32 v10, s16, v86, v10
	v_add_co_ci_u32_e64 v11, s16, v87, v11, s16
	s_or_b32 s31, vcc_lo, s31
	s_delay_alu instid0(SALU_CYCLE_1)
	s_and_not1_b32 exec_lo, exec_lo, s31
	s_cbranch_execnz .LBB12_745
.LBB12_748:                             ;   in Loop: Header=BB12_107 Depth=1
	s_set_inst_prefetch_distance 0x2
	s_or_b32 exec_lo, exec_lo, s30
	s_mov_b32 s16, 0
	s_branch .LBB12_750
.LBB12_749:                             ;   in Loop: Header=BB12_107 Depth=1
	s_mov_b32 s16, -1
.LBB12_750:                             ;   in Loop: Header=BB12_107 Depth=1
	s_delay_alu instid0(SALU_CYCLE_1)
	s_and_b32 vcc_lo, exec_lo, s16
	s_cbranch_vccz .LBB12_783
; %bb.751:                              ;   in Loop: Header=BB12_107 Depth=1
	s_mov_b32 s16, -1
	s_and_saveexec_b32 s17, s10
	s_cbranch_execz .LBB12_753
; %bb.752:                              ;   in Loop: Header=BB12_107 Depth=1
	ds_load_b32 v10, v0 offset:720
	s_waitcnt lgkmcnt(0)
	v_and_b32_e32 v10, 15, v10
	s_delay_alu instid0(VALU_DEP_1)
	v_cmp_eq_u32_e32 vcc_lo, 0, v10
	s_or_not1_b32 s16, vcc_lo, exec_lo
.LBB12_753:                             ;   in Loop: Header=BB12_107 Depth=1
	s_or_b32 exec_lo, exec_lo, s17
	s_and_saveexec_b32 s17, s10
	s_cbranch_execz .LBB12_755
; %bb.754:                              ;   in Loop: Header=BB12_107 Depth=1
	ds_load_b32 v10, v0 offset:784
	s_waitcnt lgkmcnt(0)
	v_and_b32_e32 v10, 15, v10
	s_delay_alu instid0(VALU_DEP_1) | instskip(SKIP_3) | instid1(SALU_CYCLE_1)
	v_cmp_eq_u32_e32 vcc_lo, 0, v10
	s_and_b32 s18, s16, vcc_lo
	s_and_not1_b32 s16, s16, exec_lo
	s_and_b32 s18, s18, exec_lo
	s_or_b32 s16, s16, s18
.LBB12_755:                             ;   in Loop: Header=BB12_107 Depth=1
	s_or_b32 exec_lo, exec_lo, s17
	s_xor_b32 s16, s16, -1
	v_dual_mov_b32 v38, 0 :: v_dual_mov_b32 v37, v1
	v_cndmask_b32_e64 v10, 0, 1, s16
	;;#ASMSTART
	;;#ASMEND
	s_delay_alu instid0(VALU_DEP_1)
	v_cmp_ne_u32_e32 vcc_lo, 0, v10
	v_dual_mov_b32 v100, v0 :: v_dual_mov_b32 v103, v51
	s_mov_b32 s16, -1
	s_cbranch_vccnz .LBB12_771
; %bb.756:                              ;   in Loop: Header=BB12_107 Depth=1
	v_ashrrev_i32_e32 v10, 31, v1
	s_mov_b32 s16, exec_lo
	s_delay_alu instid0(VALU_DEP_1) | instskip(NEXT) | instid1(VALU_DEP_1)
	v_lshrrev_b32_e32 v10, 20, v10
	v_add_nc_u32_e32 v10, v1, v10
	s_delay_alu instid0(VALU_DEP_1) | instskip(NEXT) | instid1(VALU_DEP_1)
	v_ashrrev_i32_e32 v37, 12, v10
	v_sub_nc_u32_e32 v101, v37, v51
	s_delay_alu instid0(VALU_DEP_1)
	v_cmpx_lt_i32_e32 0, v101
	s_cbranch_execz .LBB12_761
; %bb.757:                              ;   in Loop: Header=BB12_107 Depth=1
	s_cbranch_execnz .LBB12_1493
; %bb.758:                              ;   in Loop: Header=BB12_107 Depth=1
	ds_load_b64 v[10:11], v0
	s_mov_b32 s17, 0
	s_waitcnt lgkmcnt(0)
	v_dual_mov_b32 v13, v11 :: v_dual_mov_b32 v12, v10
.LBB12_759:                             ;   Parent Loop BB12_107 Depth=1
                                        ; =>  This Inner Loop Header: Depth=2
	s_delay_alu instid0(VALU_DEP_1) | instskip(NEXT) | instid1(VALU_DEP_2)
	v_add_co_u32 v102, vcc_lo, v85, v12
	v_add_co_ci_u32_e32 v103, vcc_lo, v96, v13, vcc_lo
	v_sub_nc_u32_e32 v101, v101, v54
	s_clause 0x7
	global_load_b128 v[112:115], v[102:103], off slc dlc
	global_load_b128 v[116:119], v[102:103], off offset:512 slc dlc
	global_load_b128 v[128:131], v[102:103], off offset:1024 slc dlc
	global_load_b128 v[132:135], v[102:103], off offset:1536 slc dlc
	global_load_b128 v[144:147], v[102:103], off offset:2048 slc dlc
	global_load_b128 v[148:151], v[102:103], off offset:2560 slc dlc
	global_load_b128 v[160:163], v[102:103], off offset:3072 slc dlc
	global_load_b128 v[164:167], v[102:103], off offset:3584 slc dlc
	v_add_co_u32 v102, vcc_lo, v85, v10
	v_add_co_ci_u32_e32 v103, vcc_lo, v96, v11, vcc_lo
	v_add_co_u32 v12, vcc_lo, v12, v97
	v_add_co_ci_u32_e32 v13, vcc_lo, v13, v98, vcc_lo
	;; [unrolled: 2-line block ×3, first 2 shown]
	v_cmp_gt_i32_e32 vcc_lo, 1, v101
	s_waitcnt vmcnt(7)
	global_store_b128 v[102:103], v[112:115], off glc slc dlc
	s_waitcnt vmcnt(6)
	global_store_b128 v[102:103], v[116:119], off offset:512 glc slc dlc
	s_waitcnt vmcnt(5)
	global_store_b128 v[102:103], v[128:131], off offset:1024 glc slc dlc
	;; [unrolled: 2-line block ×7, first 2 shown]
	s_or_b32 s17, vcc_lo, s17
	s_delay_alu instid0(SALU_CYCLE_1)
	s_and_not1_b32 exec_lo, exec_lo, s17
	s_cbranch_execnz .LBB12_759
; %bb.760:                              ;   in Loop: Header=BB12_107 Depth=1
	s_or_b32 exec_lo, exec_lo, s17
.LBB12_761:                             ;   in Loop: Header=BB12_107 Depth=1
	s_delay_alu instid0(SALU_CYCLE_1) | instskip(SKIP_4) | instid1(VALU_DEP_2)
	s_or_b32 exec_lo, exec_lo, s16
	v_lshlrev_b32_e32 v12, 12, v37
	v_mov_b32_e32 v38, 0
	s_mov_b32 s16, 0
	s_mov_b32 s18, exec_lo
                                        ; implicit-def: $vgpr37
                                        ; implicit-def: $vgpr100
                                        ; implicit-def: $vgpr103
	v_cmpx_ne_u32_e64 v1, v12
	s_cbranch_execz .LBB12_770
; %bb.762:                              ;   in Loop: Header=BB12_107 Depth=1
	v_lshlrev_b32_e32 v10, 5, v101
	v_sub_nc_u32_e32 v37, v1, v12
	s_mov_b32 s19, exec_lo
	s_delay_alu instid0(VALU_DEP_2) | instskip(NEXT) | instid1(VALU_DEP_2)
	v_sub_nc_u32_e32 v10, v53, v10
	v_ashrrev_i32_e32 v13, 31, v37
	s_delay_alu instid0(VALU_DEP_2) | instskip(NEXT) | instid1(VALU_DEP_2)
	v_ashrrev_i32_e32 v11, 31, v10
	v_lshrrev_b32_e32 v13, 23, v13
	s_delay_alu instid0(VALU_DEP_2) | instskip(NEXT) | instid1(VALU_DEP_2)
	v_lshrrev_b32_e32 v11, 27, v11
	v_add_nc_u32_e32 v100, v37, v13
	s_delay_alu instid0(VALU_DEP_2) | instskip(NEXT) | instid1(VALU_DEP_2)
	v_add_nc_u32_e32 v11, v10, v11
	v_and_b32_e32 v13, 0xfffffe00, v100
	v_ashrrev_i32_e32 v100, 9, v100
	s_delay_alu instid0(VALU_DEP_3) | instskip(NEXT) | instid1(VALU_DEP_3)
	v_and_b32_e32 v38, 0xffffffe0, v11
	v_sub_nc_u32_e32 v102, v37, v13
	s_delay_alu instid0(VALU_DEP_2) | instskip(SKIP_1) | instid1(VALU_DEP_3)
	v_sub_nc_u32_e32 v101, v10, v38
	v_ashrrev_i32_e32 v10, 5, v11
	v_cmp_lt_i32_e32 vcc_lo, 15, v102
	s_delay_alu instid0(VALU_DEP_3) | instskip(NEXT) | instid1(VALU_DEP_1)
	v_lshlrev_b32_e32 v11, 4, v101
	v_lshl_add_u32 v38, v10, 9, v11
	v_add_co_ci_u32_e64 v11, s16, 0, v100, vcc_lo
	s_delay_alu instid0(VALU_DEP_2) | instskip(NEXT) | instid1(VALU_DEP_2)
	v_sub_nc_u32_e32 v37, v37, v38
	v_sub_nc_u32_e32 v112, v11, v10
	s_delay_alu instid0(VALU_DEP_2)
	v_cmpx_lt_i32_e32 15, v37
	s_cbranch_execz .LBB12_767
; %bb.763:                              ;   in Loop: Header=BB12_107 Depth=1
	s_cbranch_execnz .LBB12_1541
; %bb.764:                              ;   in Loop: Header=BB12_107 Depth=1
	ds_load_b64 v[10:11], v0
	v_add_nc_u32_e32 v38, v38, v12
	s_mov_b32 s30, 0
	s_delay_alu instid0(VALU_DEP_1)
	v_ashrrev_i32_e32 v100, 31, v38
.LBB12_765:                             ;   Parent Loop BB12_107 Depth=1
                                        ; =>  This Inner Loop Header: Depth=2
	s_waitcnt lgkmcnt(0)
	v_add_co_u32 v117, s16, v10, v38
	s_delay_alu instid0(VALU_DEP_1)
	v_add_co_ci_u32_e64 v118, s16, v11, v100, s16
	v_sub_nc_u32_e32 v37, v37, v64
	v_add_co_u32 v38, s17, v38, v71
	global_load_b128 v[113:116], v[117:118], off slc dlc
	v_sub_nc_u32_e32 v112, v112, v54
	v_cmp_gt_i32_e64 s16, 16, v37
	v_add_co_ci_u32_e64 v100, s17, v100, v80, s17
	s_delay_alu instid0(VALU_DEP_2)
	s_or_b32 s30, s16, s30
	s_waitcnt vmcnt(0)
	global_store_b128 v[117:118], v[113:116], off glc slc dlc
	s_and_not1_b32 exec_lo, exec_lo, s30
	s_cbranch_execnz .LBB12_765
; %bb.766:                              ;   in Loop: Header=BB12_107 Depth=1
	s_or_b32 exec_lo, exec_lo, s30
.LBB12_767:                             ;   in Loop: Header=BB12_107 Depth=1
	s_delay_alu instid0(SALU_CYCLE_1) | instskip(SKIP_3) | instid1(VALU_DEP_1)
	s_or_b32 exec_lo, exec_lo, s19
	v_and_b32_e32 v10, 15, v1
	s_mov_b32 s17, 0
	s_mov_b32 s19, exec_lo
                                        ; implicit-def: $vgpr100
                                        ; implicit-def: $vgpr103
	v_dual_mov_b32 v38, 0 :: v_dual_cndmask_b32 v37, v102, v10
	s_delay_alu instid0(VALU_DEP_1)
	v_cmpx_ne_u32_e32 0, v37
; %bb.768:                              ;   in Loop: Header=BB12_107 Depth=1
	v_cmp_lt_i32_e64 s16, 0, v112
	v_sub_nc_u32_e32 v10, v102, v10
	s_mov_b32 s17, exec_lo
	s_delay_alu instid0(VALU_DEP_2) | instskip(NEXT) | instid1(VALU_DEP_1)
	v_cndmask_b32_e64 v11, 0, v54, s16
	v_sub_nc_u32_e32 v11, v11, v112
	s_delay_alu instid0(VALU_DEP_1) | instskip(NEXT) | instid1(VALU_DEP_1)
	v_lshl_add_u32 v100, v11, 5, v101
	v_ashrrev_i32_e32 v11, 31, v100
	s_delay_alu instid0(VALU_DEP_1) | instskip(NEXT) | instid1(VALU_DEP_1)
	v_lshrrev_b32_e32 v11, 27, v11
	v_dual_cndmask_b32 v10, 0, v10 :: v_dual_add_nc_u32 v11, v100, v11
	s_delay_alu instid0(VALU_DEP_1) | instskip(NEXT) | instid1(VALU_DEP_2)
	v_add3_u32 v38, v13, v12, v10
	v_ashrrev_i32_e32 v103, 5, v11
; %bb.769:                              ;   in Loop: Header=BB12_107 Depth=1
	s_or_b32 exec_lo, exec_lo, s19
	s_delay_alu instid0(SALU_CYCLE_1)
	s_and_b32 s16, s17, exec_lo
.LBB12_770:                             ;   in Loop: Header=BB12_107 Depth=1
	s_or_b32 exec_lo, exec_lo, s18
.LBB12_771:                             ;   in Loop: Header=BB12_107 Depth=1
	s_and_saveexec_b32 s17, s16
	s_cbranch_execz .LBB12_782
; %bb.772:                              ;   in Loop: Header=BB12_107 Depth=1
	v_ashrrev_i32_e32 v10, 31, v37
	s_mov_b32 s16, exec_lo
	s_delay_alu instid0(VALU_DEP_1) | instskip(NEXT) | instid1(VALU_DEP_1)
	v_lshrrev_b32_e32 v10, 22, v10
	v_add_nc_u32_e32 v10, v37, v10
	s_delay_alu instid0(VALU_DEP_1) | instskip(NEXT) | instid1(VALU_DEP_1)
	v_ashrrev_i32_e32 v102, 10, v10
	v_sub_nc_u32_e32 v101, v102, v103
	s_delay_alu instid0(VALU_DEP_1)
	v_cmpx_lt_i32_e32 0, v101
	s_cbranch_execz .LBB12_777
; %bb.773:                              ;   in Loop: Header=BB12_107 Depth=1
	s_cbranch_execnz .LBB12_1487
; %bb.774:                              ;   in Loop: Header=BB12_107 Depth=1
	v_ashrrev_i32_e32 v10, 31, v100
	s_mov_b32 s18, 0
	s_delay_alu instid0(VALU_DEP_1) | instskip(NEXT) | instid1(VALU_DEP_1)
	v_lshrrev_b32_e32 v10, 27, v10
	v_add_nc_u32_e32 v12, v100, v10
	ds_load_b64 v[10:11], v0
	v_lshlrev_b32_e32 v13, 10, v103
	v_and_b32_e32 v12, 0xffffffe0, v12
	s_delay_alu instid0(VALU_DEP_1) | instskip(NEXT) | instid1(VALU_DEP_1)
	v_sub_nc_u32_e32 v12, v100, v12
	v_add3_u32 v103, v38, v12, v13
	s_delay_alu instid0(VALU_DEP_1)
	v_ashrrev_i32_e32 v112, 31, v103
	s_waitcnt lgkmcnt(0)
	v_dual_mov_b32 v13, v11 :: v_dual_mov_b32 v12, v10
.LBB12_775:                             ;   Parent Loop BB12_107 Depth=1
                                        ; =>  This Inner Loop Header: Depth=2
	s_delay_alu instid0(VALU_DEP_1) | instskip(NEXT) | instid1(VALU_DEP_2)
	v_add_co_u32 v113, vcc_lo, v103, v12
	v_add_co_ci_u32_e32 v114, vcc_lo, v112, v13, vcc_lo
	v_sub_nc_u32_e32 v101, v101, v54
	s_clause 0x1f
	flat_load_u8 v115, v[113:114] slc dlc
	flat_load_u8 v116, v[113:114] offset:32 slc dlc
	flat_load_u8 v117, v[113:114] offset:64 slc dlc
	;; [unrolled: 1-line block ×31, first 2 shown]
	v_add_co_u32 v113, vcc_lo, v103, v10
	v_add_co_ci_u32_e32 v114, vcc_lo, v112, v11, vcc_lo
	v_add_co_u32 v12, vcc_lo, v12, v82
	v_add_co_ci_u32_e32 v13, vcc_lo, v13, v83, vcc_lo
	;; [unrolled: 2-line block ×3, first 2 shown]
	v_cmp_gt_i32_e32 vcc_lo, 1, v101
	s_waitcnt vmcnt(31) lgkmcnt(31)
	flat_store_b8 v[113:114], v115 glc slc dlc
	s_waitcnt vmcnt(30) lgkmcnt(31)
	flat_store_b8 v[113:114], v116 offset:32 glc slc dlc
	s_waitcnt vmcnt(29) lgkmcnt(31)
	flat_store_b8 v[113:114], v117 offset:64 glc slc dlc
	;; [unrolled: 2-line block ×31, first 2 shown]
	s_or_b32 s18, vcc_lo, s18
	s_delay_alu instid0(SALU_CYCLE_1)
	s_and_not1_b32 exec_lo, exec_lo, s18
	s_cbranch_execnz .LBB12_775
; %bb.776:                              ;   in Loop: Header=BB12_107 Depth=1
	s_or_b32 exec_lo, exec_lo, s18
.LBB12_777:                             ;   in Loop: Header=BB12_107 Depth=1
	s_delay_alu instid0(SALU_CYCLE_1) | instskip(SKIP_1) | instid1(VALU_DEP_1)
	s_or_b32 exec_lo, exec_lo, s16
	v_lshlrev_b32_e32 v10, 10, v102
	v_cmp_ne_u32_e32 vcc_lo, v37, v10
	s_and_b32 exec_lo, exec_lo, vcc_lo
	s_cbranch_execz .LBB12_782
; %bb.778:                              ;   in Loop: Header=BB12_107 Depth=1
	v_ashrrev_i32_e32 v11, 31, v100
	v_lshlrev_b32_e32 v12, 5, v101
	s_delay_alu instid0(VALU_DEP_2) | instskip(NEXT) | instid1(VALU_DEP_1)
	v_lshrrev_b32_e32 v11, 27, v11
	v_add_nc_u32_e32 v11, v100, v11
	s_delay_alu instid0(VALU_DEP_1) | instskip(NEXT) | instid1(VALU_DEP_1)
	v_and_b32_e32 v11, 0xffffffe0, v11
	v_sub_nc_u32_e32 v11, v100, v11
	s_delay_alu instid0(VALU_DEP_1) | instskip(NEXT) | instid1(VALU_DEP_1)
	v_sub_nc_u32_e32 v11, v11, v12
	v_add_nc_u32_e32 v13, v10, v11
	s_delay_alu instid0(VALU_DEP_1) | instskip(NEXT) | instid1(VALU_DEP_1)
	v_sub_nc_u32_e32 v12, v37, v13
	v_cmp_lt_i32_e32 vcc_lo, 0, v12
	s_and_b32 exec_lo, exec_lo, vcc_lo
	s_cbranch_execz .LBB12_782
; %bb.779:                              ;   in Loop: Header=BB12_107 Depth=1
	s_cbranch_execnz .LBB12_1537
; %bb.780:                              ;   in Loop: Header=BB12_107 Depth=1
	ds_load_b64 v[10:11], v0
	v_add_nc_u32_e32 v13, v13, v38
	s_mov_b32 s18, 0
	s_delay_alu instid0(VALU_DEP_1)
	v_ashrrev_i32_e32 v37, 31, v13
.LBB12_781:                             ;   Parent Loop BB12_107 Depth=1
                                        ; =>  This Inner Loop Header: Depth=2
	s_waitcnt lgkmcnt(0)
	v_add_co_u32 v100, vcc_lo, v10, v13
	s_delay_alu instid0(VALU_DEP_2)
	v_add_co_ci_u32_e32 v101, vcc_lo, v11, v37, vcc_lo
	v_sub_nc_u32_e32 v12, v12, v70
	v_add_co_u32 v13, s16, v13, v86
	flat_load_u8 v38, v[100:101] slc dlc
	v_add_co_ci_u32_e64 v37, s16, v37, v87, s16
	v_cmp_gt_i32_e32 vcc_lo, 1, v12
	s_or_b32 s18, vcc_lo, s18
	s_waitcnt vmcnt(0) lgkmcnt(0)
	flat_store_b8 v[100:101], v38 glc slc dlc
	s_and_not1_b32 exec_lo, exec_lo, s18
	s_cbranch_execnz .LBB12_781
.LBB12_782:                             ;   in Loop: Header=BB12_107 Depth=1
	s_or_b32 exec_lo, exec_lo, s17
.LBB12_783:                             ;   in Loop: Header=BB12_107 Depth=1
	v_cmp_lt_i32_e64 s16, 0, v1
.LBB12_784:                             ;   in Loop: Header=BB12_107 Depth=1
	s_and_saveexec_b32 s17, s3
	s_cbranch_execz .LBB12_806
; %bb.785:                              ;   in Loop: Header=BB12_107 Depth=1
	s_and_saveexec_b32 s18, s4
	s_delay_alu instid0(SALU_CYCLE_1)
	s_xor_b32 s18, exec_lo, s18
	s_cbranch_execz .LBB12_803
; %bb.786:                              ;   in Loop: Header=BB12_107 Depth=1
	s_and_saveexec_b32 s19, s5
	s_cbranch_execz .LBB12_802
; %bb.787:                              ;   in Loop: Header=BB12_107 Depth=1
	s_mov_b32 s31, exec_lo
	s_mov_b32 s30, exec_lo
	v_mbcnt_lo_u32_b32 v1, s31, 0
	s_waitcnt lgkmcnt(0)
	s_waitcnt_vscnt null, 0x0
	buffer_gl1_inv
	buffer_gl0_inv
	v_cmpx_eq_u32_e32 0, v1
	s_cbranch_execz .LBB12_789
; %bb.788:                              ;   in Loop: Header=BB12_107 Depth=1
	s_bcnt1_i32_b32 vcc_lo, s31
	s_delay_alu instid0(SALU_CYCLE_1)
	v_mov_b32_e32 v1, vcc_lo
	ds_add_u64 v0, v[1:2]
	s_cbranch_execnz .LBB12_1453
.LBB12_789:                             ;   in Loop: Header=BB12_107 Depth=1
	s_or_b32 exec_lo, exec_lo, s30
	s_cbranch_execnz .LBB12_1396
; %bb.790:                              ;   in Loop: Header=BB12_107 Depth=1
	ds_load_b64 v[10:11], v0
	v_add_co_u32 v26, vcc_lo, v26, v54
	v_add_co_ci_u32_e32 v27, vcc_lo, 0, v27, vcc_lo
	s_mov_b32 s30, exec_lo
	s_waitcnt lgkmcnt(0)
	s_delay_alu instid0(VALU_DEP_1)
	v_cmpx_lt_u64_e64 v[10:11], v[26:27]
	s_cbranch_execz .LBB12_801
; %bb.791:                              ;   in Loop: Header=BB12_107 Depth=1
	s_mov_b32 s31, 0
	s_mov_b32 s36, 0
                                        ; implicit-def: $sgpr34
                                        ; implicit-def: $sgpr35
	s_branch .LBB12_793
.LBB12_792:                             ;   in Loop: Header=BB12_793 Depth=2
	s_or_b32 exec_lo, exec_lo, s38
	s_delay_alu instid0(SALU_CYCLE_1) | instskip(NEXT) | instid1(SALU_CYCLE_1)
	s_and_b32 vcc_lo, exec_lo, vcc_lo
	s_or_b32 s31, vcc_lo, s31
	s_and_not1_b32 vcc_lo, s34, exec_lo
	s_and_b32 s34, s35, exec_lo
	s_delay_alu instid0(SALU_CYCLE_1)
	s_or_b32 s34, vcc_lo, s34
	s_and_not1_b32 exec_lo, exec_lo, s31
	s_cbranch_execz .LBB12_799
.LBB12_793:                             ;   Parent Loop BB12_107 Depth=1
                                        ; =>  This Inner Loop Header: Depth=2
	s_add_i32 s36, s36, 1
                                        ; implicit-def: $sgpr38
	s_delay_alu instid0(SALU_CYCLE_1) | instskip(SKIP_1) | instid1(SALU_CYCLE_1)
	s_cmpk_lg_i32 s36, 0x2710
	s_cselect_b32 s37, -1, 0
	s_and_b32 vcc_lo, exec_lo, s37
	s_cbranch_vccz .LBB12_797
.LBB12_794:                             ;   in Loop: Header=BB12_793 Depth=2
	s_and_not1_b32 s35, s35, exec_lo
	s_and_b32 s38, s38, exec_lo
	s_mov_b32 vcc_lo, -1
	s_or_b32 s35, s35, s38
	s_and_saveexec_b32 s38, s37
	s_cbranch_execz .LBB12_792
; %bb.795:                              ;   in Loop: Header=BB12_793 Depth=2
	s_sleep 1
	s_cbranch_execnz .LBB12_1499
; %bb.796:                              ;   in Loop: Header=BB12_793 Depth=2
	ds_load_b64 v[10:11], v0
	s_and_not1_b32 s35, s35, exec_lo
	s_waitcnt lgkmcnt(0)
	v_cmp_ge_u64_e32 vcc_lo, v[10:11], v[26:27]
	s_or_not1_b32 vcc_lo, vcc_lo, exec_lo
	s_branch .LBB12_792
.LBB12_797:                             ;   in Loop: Header=BB12_793 Depth=2
	s_cbranch_execnz .LBB12_1513
; %bb.798:                              ;   in Loop: Header=BB12_793 Depth=2
	ds_load_b64 v[10:11], v0
	s_and_not1_b32 s37, s37, exec_lo
	s_mov_b32 s36, 0
	s_mov_b32 s38, -1
	s_waitcnt lgkmcnt(0)
	flat_load_b32 v1, v[10:11] glc
	s_waitcnt vmcnt(0) lgkmcnt(0)
	buffer_gl1_inv
	buffer_gl0_inv
	v_cmp_eq_u32_e32 vcc_lo, 0, v1
	s_and_b32 vcc_lo, vcc_lo, exec_lo
	s_delay_alu instid0(SALU_CYCLE_1)
	s_or_b32 s37, s37, vcc_lo
	s_branch .LBB12_794
.LBB12_799:                             ;   in Loop: Header=BB12_107 Depth=1
	s_or_b32 exec_lo, exec_lo, s31
	s_and_saveexec_b32 vcc_lo, s34
	s_delay_alu instid0(SALU_CYCLE_1)
	s_xor_b32 vcc_lo, exec_lo, vcc_lo
	s_cbranch_execz .LBB12_801
; %bb.800:                              ;   in Loop: Header=BB12_107 Depth=1
	ds_store_b32 v0, v99
	s_cbranch_execnz .LBB12_1581
.LBB12_801:                             ;   in Loop: Header=BB12_107 Depth=1
	s_or_b32 exec_lo, exec_lo, s30
	;;#ASMSTART
	s_wakeup
	;;#ASMEND
.LBB12_802:                             ;   in Loop: Header=BB12_107 Depth=1
	s_or_b32 exec_lo, exec_lo, s19
.LBB12_803:                             ;   in Loop: Header=BB12_107 Depth=1
	s_and_not1_saveexec_b32 s18, s18
	s_cbranch_execz .LBB12_805
; %bb.804:                              ;   in Loop: Header=BB12_107 Depth=1
	s_waitcnt lgkmcnt(0)
	s_waitcnt_vscnt null, 0x0
	buffer_gl1_inv
	buffer_gl0_inv
	s_barrier
.LBB12_805:                             ;   in Loop: Header=BB12_107 Depth=1
	s_or_b32 exec_lo, exec_lo, s18
.LBB12_806:                             ;   in Loop: Header=BB12_107 Depth=1
	s_delay_alu instid0(SALU_CYCLE_1) | instskip(SKIP_1) | instid1(SALU_CYCLE_1)
	s_or_b32 exec_lo, exec_lo, s17
                                        ; implicit-def: $vgpr1
	s_and_saveexec_b32 s17, s11
	s_xor_b32 s17, exec_lo, s17
	s_cbranch_execz .LBB12_810
; %bb.807:                              ;   in Loop: Header=BB12_107 Depth=1
	v_and_b32_e32 v1, 16, v48
	s_delay_alu instid0(VALU_DEP_1) | instskip(SKIP_2) | instid1(SALU_CYCLE_1)
	v_cmp_ne_u32_e32 vcc_lo, 0, v1
	v_and_b32_e32 v1, 16, v48
	s_and_b32 s18, vcc_lo, s16
	s_and_saveexec_b32 s16, s18
	s_cbranch_execz .LBB12_809
; %bb.808:                              ;   in Loop: Header=BB12_107 Depth=1
	v_mov_b32_e32 v1, 1
	s_waitcnt lgkmcnt(0)
	s_waitcnt_vscnt null, 0x0
	buffer_gl1_inv
	buffer_gl0_inv
.LBB12_809:                             ;   in Loop: Header=BB12_107 Depth=1
	s_or_b32 exec_lo, exec_lo, s16
.LBB12_810:                             ;   in Loop: Header=BB12_107 Depth=1
	s_and_not1_saveexec_b32 s16, s17
	s_cbranch_execz .LBB12_832
; %bb.811:                              ;   in Loop: Header=BB12_107 Depth=1
	s_and_saveexec_b32 s17, s4
	s_delay_alu instid0(SALU_CYCLE_1)
	s_xor_b32 s17, exec_lo, s17
	s_cbranch_execz .LBB12_829
; %bb.812:                              ;   in Loop: Header=BB12_107 Depth=1
	s_and_saveexec_b32 s18, s5
	s_cbranch_execz .LBB12_828
; %bb.813:                              ;   in Loop: Header=BB12_107 Depth=1
	s_mov_b32 s30, exec_lo
	s_mov_b32 s19, exec_lo
	v_mbcnt_lo_u32_b32 v1, s30, 0
	;;#ASMSTART
	s_waitcnt lgkmcnt(0) vmcnt(0)
	;;#ASMEND
	s_delay_alu instid0(VALU_DEP_1)
	v_cmpx_eq_u32_e32 0, v1
	s_cbranch_execz .LBB12_815
; %bb.814:                              ;   in Loop: Header=BB12_107 Depth=1
	s_bcnt1_i32_b32 vcc_lo, s30
	s_delay_alu instid0(SALU_CYCLE_1)
	v_mov_b32_e32 v1, vcc_lo
	ds_add_u64 v0, v[1:2]
	s_cbranch_execnz .LBB12_1461
.LBB12_815:                             ;   in Loop: Header=BB12_107 Depth=1
	s_or_b32 exec_lo, exec_lo, s19
	s_cbranch_execnz .LBB12_1406
; %bb.816:                              ;   in Loop: Header=BB12_107 Depth=1
	ds_load_b64 v[10:11], v0
	v_add_co_u32 v26, vcc_lo, v26, v54
	v_add_co_ci_u32_e32 v27, vcc_lo, 0, v27, vcc_lo
	s_mov_b32 s19, exec_lo
	s_waitcnt lgkmcnt(0)
	s_delay_alu instid0(VALU_DEP_1)
	v_cmpx_lt_u64_e64 v[10:11], v[26:27]
	s_cbranch_execz .LBB12_827
; %bb.817:                              ;   in Loop: Header=BB12_107 Depth=1
	s_mov_b32 s30, 0
	s_mov_b32 s35, 0
                                        ; implicit-def: $sgpr31
                                        ; implicit-def: $sgpr34
	s_branch .LBB12_819
.LBB12_818:                             ;   in Loop: Header=BB12_819 Depth=2
	s_or_b32 exec_lo, exec_lo, s37
	s_delay_alu instid0(SALU_CYCLE_1) | instskip(NEXT) | instid1(SALU_CYCLE_1)
	s_and_b32 vcc_lo, exec_lo, vcc_lo
	s_or_b32 s30, vcc_lo, s30
	s_and_not1_b32 vcc_lo, s31, exec_lo
	s_and_b32 s31, s34, exec_lo
	s_delay_alu instid0(SALU_CYCLE_1)
	s_or_b32 s31, vcc_lo, s31
	s_and_not1_b32 exec_lo, exec_lo, s30
	s_cbranch_execz .LBB12_825
.LBB12_819:                             ;   Parent Loop BB12_107 Depth=1
                                        ; =>  This Inner Loop Header: Depth=2
	s_add_i32 s35, s35, 1
                                        ; implicit-def: $sgpr37
	s_delay_alu instid0(SALU_CYCLE_1) | instskip(SKIP_1) | instid1(SALU_CYCLE_1)
	s_cmpk_lg_i32 s35, 0x2710
	s_cselect_b32 s36, -1, 0
	s_and_b32 vcc_lo, exec_lo, s36
	s_cbranch_vccz .LBB12_823
.LBB12_820:                             ;   in Loop: Header=BB12_819 Depth=2
	s_and_not1_b32 s34, s34, exec_lo
	s_and_b32 s37, s37, exec_lo
	s_mov_b32 vcc_lo, -1
	s_or_b32 s34, s34, s37
	s_and_saveexec_b32 s37, s36
	s_cbranch_execz .LBB12_818
; %bb.821:                              ;   in Loop: Header=BB12_819 Depth=2
	s_sleep 1
	s_cbranch_execnz .LBB12_1505
; %bb.822:                              ;   in Loop: Header=BB12_819 Depth=2
	ds_load_b64 v[10:11], v0
	s_and_not1_b32 s34, s34, exec_lo
	s_waitcnt lgkmcnt(0)
	v_cmp_ge_u64_e32 vcc_lo, v[10:11], v[26:27]
	s_or_not1_b32 vcc_lo, vcc_lo, exec_lo
	s_branch .LBB12_818
.LBB12_823:                             ;   in Loop: Header=BB12_819 Depth=2
	s_cbranch_execnz .LBB12_1523
; %bb.824:                              ;   in Loop: Header=BB12_819 Depth=2
	ds_load_b64 v[10:11], v0
	s_and_not1_b32 s36, s36, exec_lo
	s_mov_b32 s35, 0
	s_mov_b32 s37, -1
	s_waitcnt lgkmcnt(0)
	s_waitcnt_vscnt null, 0x0
	flat_load_b32 v1, v[10:11] glc
	s_waitcnt vmcnt(0) lgkmcnt(0)
	buffer_gl1_inv
	buffer_gl0_inv
	v_cmp_eq_u32_e32 vcc_lo, 0, v1
	s_and_b32 vcc_lo, vcc_lo, exec_lo
	s_delay_alu instid0(SALU_CYCLE_1)
	s_or_b32 s36, s36, vcc_lo
	s_branch .LBB12_820
.LBB12_825:                             ;   in Loop: Header=BB12_107 Depth=1
	s_or_b32 exec_lo, exec_lo, s30
	s_and_saveexec_b32 vcc_lo, s31
	s_delay_alu instid0(SALU_CYCLE_1)
	s_xor_b32 vcc_lo, exec_lo, vcc_lo
	s_cbranch_execz .LBB12_827
; %bb.826:                              ;   in Loop: Header=BB12_107 Depth=1
	ds_store_b32 v0, v99
	s_cbranch_execnz .LBB12_1585
.LBB12_827:                             ;   in Loop: Header=BB12_107 Depth=1
	s_or_b32 exec_lo, exec_lo, s19
	;;#ASMSTART
	s_wakeup
	;;#ASMEND
.LBB12_828:                             ;   in Loop: Header=BB12_107 Depth=1
	s_or_b32 exec_lo, exec_lo, s18
.LBB12_829:                             ;   in Loop: Header=BB12_107 Depth=1
	s_and_not1_saveexec_b32 s17, s17
	s_cbranch_execz .LBB12_831
; %bb.830:                              ;   in Loop: Header=BB12_107 Depth=1
	;;#ASMSTART
	s_waitcnt lgkmcnt(0) vmcnt(0)
	;;#ASMEND
	s_waitcnt lgkmcnt(0)
	s_waitcnt_vscnt null, 0x0
	s_barrier
.LBB12_831:                             ;   in Loop: Header=BB12_107 Depth=1
	s_or_b32 exec_lo, exec_lo, s17
	v_and_b32_e32 v1, 16, v48
.LBB12_832:                             ;   in Loop: Header=BB12_107 Depth=1
	s_or_b32 exec_lo, exec_lo, s16
	s_delay_alu instid0(SALU_CYCLE_1) | instskip(NEXT) | instid1(VALU_DEP_1)
	s_mov_b32 s16, exec_lo
	v_cmpx_ne_u32_e32 0, v1
	s_cbranch_execz .LBB12_836
; %bb.833:                              ;   in Loop: Header=BB12_107 Depth=1
	s_and_saveexec_b32 s17, s13
	s_cbranch_execz .LBB12_835
; %bb.834:                              ;   in Loop: Header=BB12_107 Depth=1
	s_waitcnt lgkmcnt(0)
	s_waitcnt_vscnt null, 0x0
	flat_store_b32 v[24:25], v99
.LBB12_835:                             ;   in Loop: Header=BB12_107 Depth=1
	s_or_b32 exec_lo, exec_lo, s17
	v_add_co_u32 v8, vcc_lo, v8, 1
	v_add_co_ci_u32_e32 v9, vcc_lo, 0, v9, vcc_lo
	s_waitcnt lgkmcnt(0)
	s_waitcnt_vscnt null, 0x0
	flat_store_b64 v[20:21], v[8:9]
.LBB12_836:                             ;   in Loop: Header=BB12_107 Depth=1
	s_or_b32 exec_lo, exec_lo, s16
	v_mov_b32_e32 v12, v36
	v_readlane_b32 s17, v89, 0
.LBB12_837:                             ;   in Loop: Header=BB12_107 Depth=1
	s_delay_alu instid0(VALU_DEP_1)
	s_or_b32 exec_lo, exec_lo, s17
	s_mov_b32 s16, 0
	s_mov_b32 s18, s28
	s_and_saveexec_b32 s17, s14
	s_cbranch_execz .LBB12_914
; %bb.838:                              ;   in Loop: Header=BB12_107 Depth=1
	v_and_b32_e32 v1, 8, v48
	s_mov_b32 s18, -1
	s_mov_b32 s16, exec_lo
	s_delay_alu instid0(VALU_DEP_1)
	v_cmpx_ne_u32_e32 0, v1
	s_cbranch_execz .LBB12_852
; %bb.839:                              ;   in Loop: Header=BB12_107 Depth=1
	v_add_co_u32 v37, vcc_lo, v28, 8
	v_add_co_ci_u32_e32 v38, vcc_lo, 0, v29, vcc_lo
	v_add_co_u32 v10, vcc_lo, v8, 1
	v_add_co_ci_u32_e32 v11, vcc_lo, 0, v9, vcc_lo
	v_mov_b32_e32 v1, 1
	s_mov_b32 s18, exec_lo
	s_delay_alu instid0(VALU_DEP_2)
	v_cmpx_lt_u64_e64 v[37:38], v[10:11]
	s_cbranch_execz .LBB12_851
; %bb.840:                              ;   in Loop: Header=BB12_107 Depth=1
	v_mov_b32_e32 v1, 0
	s_mov_b32 s19, 0
                                        ; implicit-def: $sgpr30
	s_branch .LBB12_844
.LBB12_841:                             ;   in Loop: Header=BB12_844 Depth=2
	s_or_b32 exec_lo, exec_lo, s36
	v_mov_b32_e32 v13, 0
	s_or_not1_b32 s35, s35, exec_lo
.LBB12_842:                             ;   in Loop: Header=BB12_844 Depth=2
	s_or_b32 exec_lo, exec_lo, s34
	s_delay_alu instid0(VALU_DEP_1) | instskip(SKIP_2) | instid1(SALU_CYCLE_1)
	v_mov_b32_e32 v1, v13
	s_and_not1_b32 vcc_lo, s30, exec_lo
	s_and_b32 s30, s35, exec_lo
	s_or_b32 s30, vcc_lo, s30
.LBB12_843:                             ;   in Loop: Header=BB12_844 Depth=2
	s_or_b32 exec_lo, exec_lo, s31
	s_waitcnt vmcnt(0) lgkmcnt(0)
	v_add_co_u32 v37, vcc_lo, v28, 8
	v_add_co_ci_u32_e32 v38, vcc_lo, 0, v29, vcc_lo
	s_xor_b32 s31, s30, -1
	s_delay_alu instid0(VALU_DEP_1) | instskip(SKIP_1) | instid1(SALU_CYCLE_1)
	v_cmp_ge_u64_e32 vcc_lo, v[37:38], v[10:11]
	s_or_b32 vcc_lo, s31, vcc_lo
	s_and_b32 vcc_lo, exec_lo, vcc_lo
	s_delay_alu instid0(SALU_CYCLE_1) | instskip(NEXT) | instid1(SALU_CYCLE_1)
	s_or_b32 s19, vcc_lo, s19
	s_and_not1_b32 exec_lo, exec_lo, s19
	s_cbranch_execz .LBB12_850
.LBB12_844:                             ;   Parent Loop BB12_107 Depth=1
                                        ; =>  This Inner Loop Header: Depth=2
	s_sleep 1
	flat_load_b64 v[28:29], v[20:21] glc
	v_and_b32_e32 v13, 64, v48
	s_and_not1_b32 s30, s30, exec_lo
	s_mov_b32 s31, exec_lo
	s_delay_alu instid0(VALU_DEP_1)
	v_cmpx_eq_u32_e32 0, v13
	s_cbranch_execz .LBB12_843
; %bb.845:                              ;   in Loop: Header=BB12_844 Depth=2
	v_add_nc_u32_e32 v13, 1, v1
	s_mov_b32 s35, -1
	s_mov_b32 s34, exec_lo
	v_cmpx_lt_i32_e32 0x270e, v1
	s_cbranch_execz .LBB12_842
; %bb.846:                              ;   in Loop: Header=BB12_844 Depth=2
	s_cbranch_execnz .LBB12_1250
; %bb.847:                              ;   in Loop: Header=BB12_844 Depth=2
	ds_load_b64 v[37:38], v0
	s_mov_b32 s36, exec_lo
	s_waitcnt vmcnt(0) lgkmcnt(0)
	s_waitcnt_vscnt null, 0x0
	flat_load_b32 v1, v[37:38] glc
	s_waitcnt vmcnt(0) lgkmcnt(0)
	buffer_gl1_inv
	buffer_gl0_inv
	v_cmpx_ne_u32_e32 0, v1
	s_cbranch_execz .LBB12_841
; %bb.848:                              ;   in Loop: Header=BB12_844 Depth=2
	ds_store_b32 v0, v1
	s_cbranch_execnz .LBB12_1288
; %bb.849:                              ;   in Loop: Header=BB12_844 Depth=2
	v_or_b32_e32 v48, 64, v48
	s_xor_b32 s35, exec_lo, -1
	s_branch .LBB12_841
.LBB12_850:                             ;   in Loop: Header=BB12_107 Depth=1
	s_or_b32 exec_lo, exec_lo, s19
	v_and_b32_e32 v1, 8, v48
.LBB12_851:                             ;   in Loop: Header=BB12_107 Depth=1
	s_or_b32 exec_lo, exec_lo, s18
	s_delay_alu instid0(VALU_DEP_1)
	v_cmp_eq_u32_e32 vcc_lo, 0, v1
	;;#ASMSTART
	s_wakeup
	;;#ASMEND
	s_or_not1_b32 s18, vcc_lo, exec_lo
.LBB12_852:                             ;   in Loop: Header=BB12_107 Depth=1
	s_or_b32 exec_lo, exec_lo, s16
	v_sub_nc_u32_e32 v1, v39, v12
	s_xor_b32 s16, s18, -1
	s_delay_alu instid0(VALU_DEP_1)
	v_min_i32_e32 v10, v36, v1
	s_and_saveexec_b32 s18, s16
	s_cbranch_execz .LBB12_862
; %bb.853:                              ;   in Loop: Header=BB12_107 Depth=1
	v_and_b32_e32 v1, 0x100, v48
	s_mov_b32 s16, -1
                                        ; implicit-def: $vgpr11_vgpr12
	s_delay_alu instid0(VALU_DEP_1)
	v_cmp_ne_u32_e32 vcc_lo, 0, v1
	v_and_b32_e32 v1, 7, v8
	s_and_saveexec_b32 s19, vcc_lo
	s_cbranch_execz .LBB12_857
; %bb.854:                              ;   in Loop: Header=BB12_107 Depth=1
	s_delay_alu instid0(VALU_DEP_1)
	v_mad_u64_u32 v[36:37], null, v1, 24, v[6:7]
	v_ashrrev_i32_e32 v11, 31, v10
	flat_load_b32 v12, v[36:37]
	flat_store_b64 v[36:37], v[10:11] offset:8
	s_waitcnt vmcnt(0) lgkmcnt(1)
	v_cmp_ne_u32_e32 vcc_lo, 1, v12
	v_cmp_eq_u32_e64 s16, 1, v12
                                        ; implicit-def: $vgpr11_vgpr12
	s_delay_alu instid0(VALU_DEP_1)
	s_and_saveexec_b32 s30, s16
	s_cbranch_execz .LBB12_856
; %bb.855:                              ;   in Loop: Header=BB12_107 Depth=1
	flat_load_b32 v11, v[36:37] offset:4 glc
	s_waitcnt vmcnt(0) lgkmcnt(0)
	v_ashrrev_i32_e32 v12, 31, v11
.LBB12_856:                             ;   in Loop: Header=BB12_107 Depth=1
	s_or_b32 exec_lo, exec_lo, s30
	s_delay_alu instid0(SALU_CYCLE_1)
	s_or_not1_b32 s16, vcc_lo, exec_lo
.LBB12_857:                             ;   in Loop: Header=BB12_107 Depth=1
	s_or_b32 exec_lo, exec_lo, s19
	s_and_saveexec_b32 s19, s16
; %bb.858:                              ;   in Loop: Header=BB12_107 Depth=1
	v_mad_i64_i32 v[11:12], null, v1, v49, 0
; %bb.859:                              ;   in Loop: Header=BB12_107 Depth=1
	s_or_b32 exec_lo, exec_lo, s19
	s_delay_alu instid0(VALU_DEP_1) | instskip(SKIP_1) | instid1(VALU_DEP_3)
	v_add_co_u32 v11, vcc_lo, v22, v11
	v_and_b32_e32 v1, 0x2000, v48
	v_add_co_ci_u32_e32 v12, vcc_lo, v23, v12, vcc_lo
	s_mov_b32 s16, exec_lo
	ds_store_b64 v0, v[11:12] offset:792
	v_cmpx_ne_u32_e32 0, v1
	s_cbranch_execz .LBB12_861
; %bb.860:                              ;   in Loop: Header=BB12_107 Depth=1
	ds_load_b64 v[11:12], v0 offset:584
	s_waitcnt lgkmcnt(0)
	v_add_co_u32 v11, vcc_lo, v11, 1
	v_add_co_ci_u32_e32 v12, vcc_lo, 0, v12, vcc_lo
	ds_store_b64 v0, v[11:12] offset:584
.LBB12_861:                             ;   in Loop: Header=BB12_107 Depth=1
	s_or_b32 exec_lo, exec_lo, s16
	v_add_co_u32 v8, vcc_lo, v8, 1
	v_add_co_ci_u32_e32 v9, vcc_lo, 0, v9, vcc_lo
.LBB12_862:                             ;   in Loop: Header=BB12_107 Depth=1
	s_or_b32 exec_lo, exec_lo, s18
	s_and_saveexec_b32 s16, s3
	s_cbranch_execz .LBB12_884
; %bb.863:                              ;   in Loop: Header=BB12_107 Depth=1
	s_and_saveexec_b32 s18, s4
	s_delay_alu instid0(SALU_CYCLE_1)
	s_xor_b32 s18, exec_lo, s18
	s_cbranch_execz .LBB12_881
; %bb.864:                              ;   in Loop: Header=BB12_107 Depth=1
	s_and_saveexec_b32 s19, s5
	s_cbranch_execz .LBB12_880
; %bb.865:                              ;   in Loop: Header=BB12_107 Depth=1
	s_mov_b32 s31, exec_lo
	s_mov_b32 s30, exec_lo
	v_mbcnt_lo_u32_b32 v1, s31, 0
	s_waitcnt lgkmcnt(0)
	s_waitcnt_vscnt null, 0x0
	buffer_gl1_inv
	buffer_gl0_inv
	v_cmpx_eq_u32_e32 0, v1
	s_cbranch_execz .LBB12_867
; %bb.866:                              ;   in Loop: Header=BB12_107 Depth=1
	s_bcnt1_i32_b32 vcc_lo, s31
	s_delay_alu instid0(SALU_CYCLE_1)
	v_mov_b32_e32 v1, vcc_lo
	ds_add_u64 v0, v[1:2]
	s_cbranch_execnz .LBB12_1318
.LBB12_867:                             ;   in Loop: Header=BB12_107 Depth=1
	s_or_b32 exec_lo, exec_lo, s30
	s_cbranch_execnz .LBB12_1296
; %bb.868:                              ;   in Loop: Header=BB12_107 Depth=1
	ds_load_b64 v[11:12], v0
	v_add_co_u32 v26, vcc_lo, v26, v54
	v_add_co_ci_u32_e32 v27, vcc_lo, 0, v27, vcc_lo
	s_mov_b32 s30, exec_lo
	s_waitcnt lgkmcnt(0)
	s_delay_alu instid0(VALU_DEP_1)
	v_cmpx_lt_u64_e64 v[11:12], v[26:27]
	s_cbranch_execz .LBB12_879
; %bb.869:                              ;   in Loop: Header=BB12_107 Depth=1
	s_mov_b32 s31, 0
	s_mov_b32 s36, 0
                                        ; implicit-def: $sgpr34
                                        ; implicit-def: $sgpr35
	s_branch .LBB12_871
.LBB12_870:                             ;   in Loop: Header=BB12_871 Depth=2
	s_or_b32 exec_lo, exec_lo, s38
	s_delay_alu instid0(SALU_CYCLE_1) | instskip(NEXT) | instid1(SALU_CYCLE_1)
	s_and_b32 vcc_lo, exec_lo, vcc_lo
	s_or_b32 s31, vcc_lo, s31
	s_and_not1_b32 vcc_lo, s34, exec_lo
	s_and_b32 s34, s35, exec_lo
	s_delay_alu instid0(SALU_CYCLE_1)
	s_or_b32 s34, vcc_lo, s34
	s_and_not1_b32 exec_lo, exec_lo, s31
	s_cbranch_execz .LBB12_877
.LBB12_871:                             ;   Parent Loop BB12_107 Depth=1
                                        ; =>  This Inner Loop Header: Depth=2
	s_add_i32 s36, s36, 1
                                        ; implicit-def: $sgpr38
	s_delay_alu instid0(SALU_CYCLE_1) | instskip(SKIP_1) | instid1(SALU_CYCLE_1)
	s_cmpk_lg_i32 s36, 0x2710
	s_cselect_b32 s37, -1, 0
	s_and_b32 vcc_lo, exec_lo, s37
	s_cbranch_vccz .LBB12_875
.LBB12_872:                             ;   in Loop: Header=BB12_871 Depth=2
	s_and_not1_b32 s35, s35, exec_lo
	s_and_b32 s38, s38, exec_lo
	s_mov_b32 vcc_lo, -1
	s_or_b32 s35, s35, s38
	s_and_saveexec_b32 s38, s37
	s_cbranch_execz .LBB12_870
; %bb.873:                              ;   in Loop: Header=BB12_871 Depth=2
	s_sleep 1
	s_cbranch_execnz .LBB12_1370
; %bb.874:                              ;   in Loop: Header=BB12_871 Depth=2
	ds_load_b64 v[11:12], v0
	s_and_not1_b32 s35, s35, exec_lo
	s_waitcnt lgkmcnt(0)
	v_cmp_ge_u64_e32 vcc_lo, v[11:12], v[26:27]
	s_or_not1_b32 vcc_lo, vcc_lo, exec_lo
	s_branch .LBB12_870
.LBB12_875:                             ;   in Loop: Header=BB12_871 Depth=2
	s_cbranch_execnz .LBB12_1384
; %bb.876:                              ;   in Loop: Header=BB12_871 Depth=2
	ds_load_b64 v[11:12], v0
	s_and_not1_b32 s37, s37, exec_lo
	s_mov_b32 s36, 0
	s_mov_b32 s38, -1
	s_waitcnt lgkmcnt(0)
	flat_load_b32 v1, v[11:12] glc
	s_waitcnt vmcnt(0) lgkmcnt(0)
	buffer_gl1_inv
	buffer_gl0_inv
	v_cmp_eq_u32_e32 vcc_lo, 0, v1
	s_and_b32 vcc_lo, vcc_lo, exec_lo
	s_delay_alu instid0(SALU_CYCLE_1)
	s_or_b32 s37, s37, vcc_lo
	s_branch .LBB12_872
.LBB12_877:                             ;   in Loop: Header=BB12_107 Depth=1
	s_or_b32 exec_lo, exec_lo, s31
	s_and_saveexec_b32 vcc_lo, s34
	s_delay_alu instid0(SALU_CYCLE_1)
	s_xor_b32 vcc_lo, exec_lo, vcc_lo
	s_cbranch_execz .LBB12_879
; %bb.878:                              ;   in Loop: Header=BB12_107 Depth=1
	ds_store_b32 v0, v99
	s_cbranch_execnz .LBB12_1551
.LBB12_879:                             ;   in Loop: Header=BB12_107 Depth=1
	s_or_b32 exec_lo, exec_lo, s30
	;;#ASMSTART
	s_wakeup
	;;#ASMEND
.LBB12_880:                             ;   in Loop: Header=BB12_107 Depth=1
	s_or_b32 exec_lo, exec_lo, s19
.LBB12_881:                             ;   in Loop: Header=BB12_107 Depth=1
	s_and_not1_saveexec_b32 s18, s18
	s_cbranch_execz .LBB12_883
; %bb.882:                              ;   in Loop: Header=BB12_107 Depth=1
	s_waitcnt lgkmcnt(0)
	s_waitcnt_vscnt null, 0x0
	buffer_gl1_inv
	buffer_gl0_inv
	s_barrier
.LBB12_883:                             ;   in Loop: Header=BB12_107 Depth=1
	s_or_b32 exec_lo, exec_lo, s18
.LBB12_884:                             ;   in Loop: Header=BB12_107 Depth=1
	s_delay_alu instid0(SALU_CYCLE_1) | instskip(SKIP_1) | instid1(SALU_CYCLE_1)
	s_or_b32 exec_lo, exec_lo, s16
                                        ; implicit-def: $vgpr1
	s_and_saveexec_b32 s16, s11
	s_xor_b32 s18, exec_lo, s16
	s_cbranch_execz .LBB12_889
; %bb.885:                              ;   in Loop: Header=BB12_107 Depth=1
	s_cbranch_execnz .LBB12_1241
; %bb.886:                              ;   in Loop: Header=BB12_107 Depth=1
	ds_load_b32 v1, v0
	v_cmp_lt_i32_e32 vcc_lo, 0, v10
	s_waitcnt lgkmcnt(0)
	v_readfirstlane_b32 s16, v1
	v_and_b32_e32 v1, 16, v48
	s_delay_alu instid0(VALU_DEP_2) | instskip(NEXT) | instid1(VALU_DEP_1)
	s_cmp_eq_u32 s16, 0
	v_cmp_ne_u32_e64 s16, 0, v1
	s_cselect_b32 s19, -1, 0
	v_and_b32_e32 v1, 16, v48
	s_and_b32 s19, vcc_lo, s19
	s_delay_alu instid0(VALU_DEP_2) | instid1(SALU_CYCLE_1)
	s_and_b32 s19, s16, s19
	s_delay_alu instid0(SALU_CYCLE_1)
	s_and_saveexec_b32 s16, s19
	s_cbranch_execz .LBB12_888
; %bb.887:                              ;   in Loop: Header=BB12_107 Depth=1
	v_mov_b32_e32 v1, 1
	s_waitcnt_vscnt null, 0x0
	buffer_gl1_inv
	buffer_gl0_inv
.LBB12_888:                             ;   in Loop: Header=BB12_107 Depth=1
	s_or_b32 exec_lo, exec_lo, s16
.LBB12_889:                             ;   in Loop: Header=BB12_107 Depth=1
	s_and_not1_saveexec_b32 s16, s18
	s_cbranch_execz .LBB12_911
; %bb.890:                              ;   in Loop: Header=BB12_107 Depth=1
	s_and_saveexec_b32 s18, s4
	s_delay_alu instid0(SALU_CYCLE_1)
	s_xor_b32 s18, exec_lo, s18
	s_cbranch_execz .LBB12_908
; %bb.891:                              ;   in Loop: Header=BB12_107 Depth=1
	s_and_saveexec_b32 s19, s5
	s_cbranch_execz .LBB12_907
; %bb.892:                              ;   in Loop: Header=BB12_107 Depth=1
	s_mov_b32 s31, exec_lo
	s_mov_b32 s30, exec_lo
	v_mbcnt_lo_u32_b32 v1, s31, 0
	;;#ASMSTART
	s_waitcnt lgkmcnt(0) vmcnt(0)
	;;#ASMEND
	s_delay_alu instid0(VALU_DEP_1)
	v_cmpx_eq_u32_e32 0, v1
	s_cbranch_execz .LBB12_894
; %bb.893:                              ;   in Loop: Header=BB12_107 Depth=1
	s_bcnt1_i32_b32 vcc_lo, s31
	s_delay_alu instid0(SALU_CYCLE_1)
	v_mov_b32_e32 v1, vcc_lo
	ds_add_u64 v0, v[1:2]
	s_cbranch_execnz .LBB12_1338
.LBB12_894:                             ;   in Loop: Header=BB12_107 Depth=1
	s_or_b32 exec_lo, exec_lo, s30
	s_cbranch_execnz .LBB12_1314
; %bb.895:                              ;   in Loop: Header=BB12_107 Depth=1
	ds_load_b64 v[10:11], v0
	v_add_co_u32 v26, vcc_lo, v26, v54
	v_add_co_ci_u32_e32 v27, vcc_lo, 0, v27, vcc_lo
	s_mov_b32 s30, exec_lo
	s_waitcnt lgkmcnt(0)
	s_delay_alu instid0(VALU_DEP_1)
	v_cmpx_lt_u64_e64 v[10:11], v[26:27]
	s_cbranch_execz .LBB12_906
; %bb.896:                              ;   in Loop: Header=BB12_107 Depth=1
	s_mov_b32 s31, 0
	s_mov_b32 s36, 0
                                        ; implicit-def: $sgpr34
                                        ; implicit-def: $sgpr35
	s_branch .LBB12_898
.LBB12_897:                             ;   in Loop: Header=BB12_898 Depth=2
	s_or_b32 exec_lo, exec_lo, s38
	s_delay_alu instid0(SALU_CYCLE_1) | instskip(NEXT) | instid1(SALU_CYCLE_1)
	s_and_b32 vcc_lo, exec_lo, vcc_lo
	s_or_b32 s31, vcc_lo, s31
	s_and_not1_b32 vcc_lo, s34, exec_lo
	s_and_b32 s34, s35, exec_lo
	s_delay_alu instid0(SALU_CYCLE_1)
	s_or_b32 s34, vcc_lo, s34
	s_and_not1_b32 exec_lo, exec_lo, s31
	s_cbranch_execz .LBB12_904
.LBB12_898:                             ;   Parent Loop BB12_107 Depth=1
                                        ; =>  This Inner Loop Header: Depth=2
	s_add_i32 s36, s36, 1
                                        ; implicit-def: $sgpr38
	s_delay_alu instid0(SALU_CYCLE_1) | instskip(SKIP_1) | instid1(SALU_CYCLE_1)
	s_cmpk_lg_i32 s36, 0x2710
	s_cselect_b32 s37, -1, 0
	s_and_b32 vcc_lo, exec_lo, s37
	s_cbranch_vccz .LBB12_902
.LBB12_899:                             ;   in Loop: Header=BB12_898 Depth=2
	s_and_not1_b32 s35, s35, exec_lo
	s_and_b32 s38, s38, exec_lo
	s_mov_b32 vcc_lo, -1
	s_or_b32 s35, s35, s38
	s_and_saveexec_b32 s38, s37
	s_cbranch_execz .LBB12_897
; %bb.900:                              ;   in Loop: Header=BB12_898 Depth=2
	s_sleep 1
	s_cbranch_execnz .LBB12_1402
; %bb.901:                              ;   in Loop: Header=BB12_898 Depth=2
	ds_load_b64 v[10:11], v0
	s_and_not1_b32 s35, s35, exec_lo
	s_waitcnt lgkmcnt(0)
	v_cmp_ge_u64_e32 vcc_lo, v[10:11], v[26:27]
	s_or_not1_b32 vcc_lo, vcc_lo, exec_lo
	s_branch .LBB12_897
.LBB12_902:                             ;   in Loop: Header=BB12_898 Depth=2
	s_cbranch_execnz .LBB12_1439
; %bb.903:                              ;   in Loop: Header=BB12_898 Depth=2
	ds_load_b64 v[10:11], v0
	s_and_not1_b32 s37, s37, exec_lo
	s_mov_b32 s36, 0
	s_mov_b32 s38, -1
	s_waitcnt lgkmcnt(0)
	s_waitcnt_vscnt null, 0x0
	flat_load_b32 v1, v[10:11] glc
	s_waitcnt vmcnt(0) lgkmcnt(0)
	buffer_gl1_inv
	buffer_gl0_inv
	v_cmp_eq_u32_e32 vcc_lo, 0, v1
	s_and_b32 vcc_lo, vcc_lo, exec_lo
	s_delay_alu instid0(SALU_CYCLE_1)
	s_or_b32 s37, s37, vcc_lo
	s_branch .LBB12_899
.LBB12_904:                             ;   in Loop: Header=BB12_107 Depth=1
	s_or_b32 exec_lo, exec_lo, s31
	s_and_saveexec_b32 vcc_lo, s34
	s_delay_alu instid0(SALU_CYCLE_1)
	s_xor_b32 vcc_lo, exec_lo, vcc_lo
	s_cbranch_execz .LBB12_906
; %bb.905:                              ;   in Loop: Header=BB12_107 Depth=1
	ds_store_b32 v0, v99
	s_cbranch_execnz .LBB12_1561
.LBB12_906:                             ;   in Loop: Header=BB12_107 Depth=1
	s_or_b32 exec_lo, exec_lo, s30
	;;#ASMSTART
	s_wakeup
	;;#ASMEND
.LBB12_907:                             ;   in Loop: Header=BB12_107 Depth=1
	s_or_b32 exec_lo, exec_lo, s19
.LBB12_908:                             ;   in Loop: Header=BB12_107 Depth=1
	s_and_not1_saveexec_b32 s18, s18
	s_cbranch_execz .LBB12_910
; %bb.909:                              ;   in Loop: Header=BB12_107 Depth=1
	;;#ASMSTART
	s_waitcnt lgkmcnt(0) vmcnt(0)
	;;#ASMEND
	s_waitcnt lgkmcnt(0)
	s_waitcnt_vscnt null, 0x0
	s_barrier
.LBB12_910:                             ;   in Loop: Header=BB12_107 Depth=1
	s_or_b32 exec_lo, exec_lo, s18
	v_and_b32_e32 v1, 16, v48
.LBB12_911:                             ;   in Loop: Header=BB12_107 Depth=1
	s_or_b32 exec_lo, exec_lo, s16
	s_mov_b32 s16, 0
	s_mov_b32 s18, s28
	s_mov_b32 s19, exec_lo
	v_cmpx_ne_u32_e32 0, v1
	s_xor_b32 s19, exec_lo, s19
; %bb.912:                              ;   in Loop: Header=BB12_107 Depth=1
	s_and_not1_b32 s16, s28, exec_lo
	s_and_b32 s18, s12, exec_lo
	s_delay_alu instid0(SALU_CYCLE_1)
	s_or_b32 s18, s16, s18
	s_and_b32 s16, s13, exec_lo
; %bb.913:                              ;   in Loop: Header=BB12_107 Depth=1
	s_or_b32 exec_lo, exec_lo, s19
	s_delay_alu instid0(SALU_CYCLE_1)
	s_and_not1_b32 s19, s28, exec_lo
	s_and_b32 s18, s18, exec_lo
	s_and_b32 s16, s16, exec_lo
	s_or_b32 s18, s19, s18
.LBB12_914:                             ;   in Loop: Header=BB12_107 Depth=1
	s_or_b32 exec_lo, exec_lo, s17
	s_delay_alu instid0(SALU_CYCLE_1) | instskip(SKIP_1) | instid1(SALU_CYCLE_1)
	s_and_not1_b32 s17, s28, exec_lo
	s_and_b32 s18, s18, exec_lo
                                        ; implicit-def: $vgpr36
                                        ; implicit-def: $vgpr39
                                        ; implicit-def: $vgpr1
                                        ; implicit-def: $vgpr10
	s_or_b32 s17, s17, s18
	s_and_b32 s18, s16, exec_lo
.LBB12_915:                             ;   in Loop: Header=BB12_107 Depth=1
	s_and_not1_saveexec_b32 s19, vcc_hi
	s_cbranch_execz .LBB12_1154
; %bb.916:                              ;   in Loop: Header=BB12_107 Depth=1
	v_mov_b32_e32 v12, 0
	s_and_saveexec_b32 vcc_hi, s15
	s_cbranch_execz .LBB12_1076
; %bb.917:                              ;   in Loop: Header=BB12_107 Depth=1
	s_and_saveexec_b32 s15, s0
	s_cbranch_execz .LBB12_920
; %bb.918:                              ;   in Loop: Header=BB12_107 Depth=1
	s_cbranch_execnz .LBB12_1219
; %bb.919:                              ;   in Loop: Header=BB12_107 Depth=1
	ds_load_b64 v[11:12], v0
	s_waitcnt lgkmcnt(0)
	v_add_co_u32 v11, vcc_lo, v11, v1
	v_add_co_ci_u32_e32 v12, vcc_lo, v12, v10, vcc_lo
	v_mov_b32_e32 v1, v2
	ds_store_b64 v0, v[11:12]
	ds_store_b64 v0, v[1:2]
.LBB12_920:                             ;   in Loop: Header=BB12_107 Depth=1
	s_or_b32 exec_lo, exec_lo, s15
	v_and_b32_e32 v1, 8, v48
	s_mov_b32 s16, -1
	s_mov_b32 s15, exec_lo
	s_delay_alu instid0(VALU_DEP_1)
	v_cmpx_ne_u32_e32 0, v1
	s_cbranch_execz .LBB12_934
; %bb.921:                              ;   in Loop: Header=BB12_107 Depth=1
	v_add_co_u32 v12, vcc_lo, v28, 8
	v_add_co_ci_u32_e32 v13, vcc_lo, 0, v29, vcc_lo
	v_add_co_u32 v10, vcc_lo, v8, 1
	v_add_co_ci_u32_e32 v11, vcc_lo, 0, v9, vcc_lo
	v_mov_b32_e32 v1, 1
	s_mov_b32 s16, exec_lo
	s_delay_alu instid0(VALU_DEP_2)
	v_cmpx_lt_u64_e64 v[12:13], v[10:11]
	s_cbranch_execz .LBB12_933
; %bb.922:                              ;   in Loop: Header=BB12_107 Depth=1
	v_mov_b32_e32 v1, 0
	s_mov_b32 s30, 0
                                        ; implicit-def: $sgpr31
	s_branch .LBB12_926
.LBB12_923:                             ;   in Loop: Header=BB12_926 Depth=2
	s_or_b32 exec_lo, exec_lo, s37
	v_mov_b32_e32 v12, 0
	s_or_not1_b32 s36, s36, exec_lo
.LBB12_924:                             ;   in Loop: Header=BB12_926 Depth=2
	s_or_b32 exec_lo, exec_lo, s35
	s_delay_alu instid0(VALU_DEP_1) | instskip(SKIP_2) | instid1(SALU_CYCLE_1)
	v_mov_b32_e32 v1, v12
	s_and_not1_b32 vcc_lo, s31, exec_lo
	s_and_b32 s31, s36, exec_lo
	s_or_b32 s31, vcc_lo, s31
.LBB12_925:                             ;   in Loop: Header=BB12_926 Depth=2
	s_or_b32 exec_lo, exec_lo, s34
	s_waitcnt vmcnt(0) lgkmcnt(0)
	v_add_co_u32 v12, vcc_lo, v28, 8
	v_add_co_ci_u32_e32 v13, vcc_lo, 0, v29, vcc_lo
	s_xor_b32 s34, s31, -1
	s_delay_alu instid0(VALU_DEP_1) | instskip(SKIP_1) | instid1(SALU_CYCLE_1)
	v_cmp_ge_u64_e32 vcc_lo, v[12:13], v[10:11]
	s_or_b32 vcc_lo, s34, vcc_lo
	s_and_b32 vcc_lo, exec_lo, vcc_lo
	s_delay_alu instid0(SALU_CYCLE_1) | instskip(NEXT) | instid1(SALU_CYCLE_1)
	s_or_b32 s30, vcc_lo, s30
	s_and_not1_b32 exec_lo, exec_lo, s30
	s_cbranch_execz .LBB12_932
.LBB12_926:                             ;   Parent Loop BB12_107 Depth=1
                                        ; =>  This Inner Loop Header: Depth=2
	s_sleep 1
	flat_load_b64 v[28:29], v[20:21] glc
	v_and_b32_e32 v12, 64, v48
	s_and_not1_b32 s31, s31, exec_lo
	s_mov_b32 s34, exec_lo
	s_delay_alu instid0(VALU_DEP_1)
	v_cmpx_eq_u32_e32 0, v12
	s_cbranch_execz .LBB12_925
; %bb.927:                              ;   in Loop: Header=BB12_926 Depth=2
	v_add_nc_u32_e32 v12, 1, v1
	s_mov_b32 s36, -1
	s_mov_b32 s35, exec_lo
	v_cmpx_lt_i32_e32 0x270e, v1
	s_cbranch_execz .LBB12_924
; %bb.928:                              ;   in Loop: Header=BB12_926 Depth=2
	s_cbranch_execnz .LBB12_1252
; %bb.929:                              ;   in Loop: Header=BB12_926 Depth=2
	ds_load_b64 v[12:13], v0
	s_mov_b32 s37, exec_lo
	s_waitcnt vmcnt(0) lgkmcnt(0)
	s_waitcnt_vscnt null, 0x0
	flat_load_b32 v1, v[12:13] glc
	s_waitcnt vmcnt(0) lgkmcnt(0)
	buffer_gl1_inv
	buffer_gl0_inv
	v_cmpx_ne_u32_e32 0, v1
	s_cbranch_execz .LBB12_923
; %bb.930:                              ;   in Loop: Header=BB12_926 Depth=2
	ds_store_b32 v0, v1
	s_cbranch_execnz .LBB12_1290
; %bb.931:                              ;   in Loop: Header=BB12_926 Depth=2
	v_or_b32_e32 v48, 64, v48
	s_xor_b32 s36, exec_lo, -1
	s_branch .LBB12_923
.LBB12_932:                             ;   in Loop: Header=BB12_107 Depth=1
	s_or_b32 exec_lo, exec_lo, s30
	v_and_b32_e32 v1, 8, v48
.LBB12_933:                             ;   in Loop: Header=BB12_107 Depth=1
	s_or_b32 exec_lo, exec_lo, s16
	s_delay_alu instid0(VALU_DEP_1)
	v_cmp_eq_u32_e32 vcc_lo, 0, v1
	;;#ASMSTART
	s_wakeup
	;;#ASMEND
	s_or_not1_b32 s16, vcc_lo, exec_lo
.LBB12_934:                             ;   in Loop: Header=BB12_107 Depth=1
	s_or_b32 exec_lo, exec_lo, s15
	v_min_i32_e32 v36, v36, v39
	s_xor_b32 s15, s16, -1
	s_delay_alu instid0(SALU_CYCLE_1)
	s_and_saveexec_b32 s16, s15
	s_cbranch_execz .LBB12_944
; %bb.935:                              ;   in Loop: Header=BB12_107 Depth=1
	v_and_b32_e32 v1, 0x100, v48
	s_mov_b32 s15, -1
                                        ; implicit-def: $vgpr10_vgpr11
	s_delay_alu instid0(VALU_DEP_1)
	v_cmp_ne_u32_e32 vcc_lo, 0, v1
	v_and_b32_e32 v1, 7, v8
	s_and_saveexec_b32 s30, vcc_lo
	s_cbranch_execz .LBB12_939
; %bb.936:                              ;   in Loop: Header=BB12_107 Depth=1
	s_delay_alu instid0(VALU_DEP_1)
	v_mad_u64_u32 v[12:13], null, v1, 24, v[6:7]
	v_ashrrev_i32_e32 v37, 31, v36
	flat_load_b32 v10, v[12:13]
	flat_store_b64 v[12:13], v[36:37] offset:8
	s_waitcnt vmcnt(0) lgkmcnt(1)
	v_cmp_ne_u32_e32 vcc_lo, 1, v10
	v_cmp_eq_u32_e64 s15, 1, v10
                                        ; implicit-def: $vgpr10_vgpr11
	s_delay_alu instid0(VALU_DEP_1)
	s_and_saveexec_b32 s31, s15
	s_cbranch_execz .LBB12_938
; %bb.937:                              ;   in Loop: Header=BB12_107 Depth=1
	flat_load_b32 v10, v[12:13] offset:4 glc
	s_waitcnt vmcnt(0) lgkmcnt(0)
	v_ashrrev_i32_e32 v11, 31, v10
.LBB12_938:                             ;   in Loop: Header=BB12_107 Depth=1
	s_or_b32 exec_lo, exec_lo, s31
	s_delay_alu instid0(SALU_CYCLE_1)
	s_or_not1_b32 s15, vcc_lo, exec_lo
.LBB12_939:                             ;   in Loop: Header=BB12_107 Depth=1
	s_or_b32 exec_lo, exec_lo, s30
	s_and_saveexec_b32 vcc_lo, s15
; %bb.940:                              ;   in Loop: Header=BB12_107 Depth=1
	v_mad_i64_i32 v[10:11], null, v1, v49, 0
; %bb.941:                              ;   in Loop: Header=BB12_107 Depth=1
	s_or_b32 exec_lo, exec_lo, vcc_lo
	s_delay_alu instid0(VALU_DEP_1) | instskip(SKIP_1) | instid1(VALU_DEP_3)
	v_add_co_u32 v10, vcc_lo, v22, v10
	v_and_b32_e32 v1, 0x2000, v48
	v_add_co_ci_u32_e32 v11, vcc_lo, v23, v11, vcc_lo
	s_mov_b32 s15, exec_lo
	ds_store_b64 v0, v[10:11] offset:784
	v_cmpx_ne_u32_e32 0, v1
	s_cbranch_execz .LBB12_943
; %bb.942:                              ;   in Loop: Header=BB12_107 Depth=1
	ds_load_b64 v[10:11], v0 offset:584
	s_waitcnt lgkmcnt(0)
	v_add_co_u32 v10, vcc_lo, v10, 1
	v_add_co_ci_u32_e32 v11, vcc_lo, 0, v11, vcc_lo
	ds_store_b64 v0, v[10:11] offset:584
.LBB12_943:                             ;   in Loop: Header=BB12_107 Depth=1
	s_or_b32 exec_lo, exec_lo, s15
	v_add_co_u32 v8, vcc_lo, v8, 1
	v_add_co_ci_u32_e32 v9, vcc_lo, 0, v9, vcc_lo
.LBB12_944:                             ;   in Loop: Header=BB12_107 Depth=1
	s_or_b32 exec_lo, exec_lo, s16
	s_and_saveexec_b32 s15, s3
	s_cbranch_execz .LBB12_966
; %bb.945:                              ;   in Loop: Header=BB12_107 Depth=1
	s_and_saveexec_b32 s16, s4
	s_delay_alu instid0(SALU_CYCLE_1)
	s_xor_b32 s16, exec_lo, s16
	s_cbranch_execz .LBB12_963
; %bb.946:                              ;   in Loop: Header=BB12_107 Depth=1
	s_and_saveexec_b32 s30, s5
	s_cbranch_execz .LBB12_962
; %bb.947:                              ;   in Loop: Header=BB12_107 Depth=1
	s_mov_b32 s34, exec_lo
	s_mov_b32 s31, exec_lo
	v_mbcnt_lo_u32_b32 v1, s34, 0
	s_waitcnt lgkmcnt(0)
	s_waitcnt_vscnt null, 0x0
	buffer_gl1_inv
	buffer_gl0_inv
	v_cmpx_eq_u32_e32 0, v1
	s_cbranch_execz .LBB12_949
; %bb.948:                              ;   in Loop: Header=BB12_107 Depth=1
	s_bcnt1_i32_b32 vcc_lo, s34
	s_delay_alu instid0(SALU_CYCLE_1)
	v_mov_b32_e32 v1, vcc_lo
	ds_add_u64 v0, v[1:2]
	s_cbranch_execnz .LBB12_1320
.LBB12_949:                             ;   in Loop: Header=BB12_107 Depth=1
	s_or_b32 exec_lo, exec_lo, s31
	s_cbranch_execnz .LBB12_1298
; %bb.950:                              ;   in Loop: Header=BB12_107 Depth=1
	ds_load_b64 v[10:11], v0
	v_add_co_u32 v26, vcc_lo, v26, v54
	v_add_co_ci_u32_e32 v27, vcc_lo, 0, v27, vcc_lo
	s_mov_b32 s31, exec_lo
	s_waitcnt lgkmcnt(0)
	s_delay_alu instid0(VALU_DEP_1)
	v_cmpx_lt_u64_e64 v[10:11], v[26:27]
	s_cbranch_execz .LBB12_961
; %bb.951:                              ;   in Loop: Header=BB12_107 Depth=1
	s_mov_b32 s34, 0
	s_mov_b32 s37, 0
                                        ; implicit-def: $sgpr35
                                        ; implicit-def: $sgpr36
	s_branch .LBB12_953
.LBB12_952:                             ;   in Loop: Header=BB12_953 Depth=2
	s_or_b32 exec_lo, exec_lo, s39
	s_delay_alu instid0(SALU_CYCLE_1) | instskip(NEXT) | instid1(SALU_CYCLE_1)
	s_and_b32 vcc_lo, exec_lo, vcc_lo
	s_or_b32 s34, vcc_lo, s34
	s_and_not1_b32 vcc_lo, s35, exec_lo
	s_and_b32 s35, s36, exec_lo
	s_delay_alu instid0(SALU_CYCLE_1)
	s_or_b32 s35, vcc_lo, s35
	s_and_not1_b32 exec_lo, exec_lo, s34
	s_cbranch_execz .LBB12_959
.LBB12_953:                             ;   Parent Loop BB12_107 Depth=1
                                        ; =>  This Inner Loop Header: Depth=2
	s_add_i32 s37, s37, 1
                                        ; implicit-def: $sgpr39
	s_delay_alu instid0(SALU_CYCLE_1) | instskip(SKIP_1) | instid1(SALU_CYCLE_1)
	s_cmpk_lg_i32 s37, 0x2710
	s_cselect_b32 s38, -1, 0
	s_and_b32 vcc_lo, exec_lo, s38
	s_cbranch_vccz .LBB12_957
.LBB12_954:                             ;   in Loop: Header=BB12_953 Depth=2
	s_and_not1_b32 s36, s36, exec_lo
	s_and_b32 s39, s39, exec_lo
	s_mov_b32 vcc_lo, -1
	s_or_b32 s36, s36, s39
	s_and_saveexec_b32 s39, s38
	s_cbranch_execz .LBB12_952
; %bb.955:                              ;   in Loop: Header=BB12_953 Depth=2
	s_sleep 1
	s_cbranch_execnz .LBB12_1374
; %bb.956:                              ;   in Loop: Header=BB12_953 Depth=2
	ds_load_b64 v[10:11], v0
	s_and_not1_b32 s36, s36, exec_lo
	s_waitcnt lgkmcnt(0)
	v_cmp_ge_u64_e32 vcc_lo, v[10:11], v[26:27]
	s_or_not1_b32 vcc_lo, vcc_lo, exec_lo
	s_branch .LBB12_952
.LBB12_957:                             ;   in Loop: Header=BB12_953 Depth=2
	s_cbranch_execnz .LBB12_1386
; %bb.958:                              ;   in Loop: Header=BB12_953 Depth=2
	ds_load_b64 v[10:11], v0
	s_and_not1_b32 s38, s38, exec_lo
	s_mov_b32 s37, 0
	s_mov_b32 s39, -1
	s_waitcnt lgkmcnt(0)
	flat_load_b32 v1, v[10:11] glc
	s_waitcnt vmcnt(0) lgkmcnt(0)
	buffer_gl1_inv
	buffer_gl0_inv
	v_cmp_eq_u32_e32 vcc_lo, 0, v1
	s_and_b32 vcc_lo, vcc_lo, exec_lo
	s_delay_alu instid0(SALU_CYCLE_1)
	s_or_b32 s38, s38, vcc_lo
	s_branch .LBB12_954
.LBB12_959:                             ;   in Loop: Header=BB12_107 Depth=1
	s_or_b32 exec_lo, exec_lo, s34
	s_and_saveexec_b32 vcc_lo, s35
	s_delay_alu instid0(SALU_CYCLE_1)
	s_xor_b32 vcc_lo, exec_lo, vcc_lo
	s_cbranch_execz .LBB12_961
; %bb.960:                              ;   in Loop: Header=BB12_107 Depth=1
	ds_store_b32 v0, v99
	s_cbranch_execnz .LBB12_1553
.LBB12_961:                             ;   in Loop: Header=BB12_107 Depth=1
	s_or_b32 exec_lo, exec_lo, s31
	;;#ASMSTART
	s_wakeup
	;;#ASMEND
.LBB12_962:                             ;   in Loop: Header=BB12_107 Depth=1
	s_or_b32 exec_lo, exec_lo, s30
.LBB12_963:                             ;   in Loop: Header=BB12_107 Depth=1
	s_and_not1_saveexec_b32 s16, s16
	s_cbranch_execz .LBB12_965
; %bb.964:                              ;   in Loop: Header=BB12_107 Depth=1
	s_waitcnt lgkmcnt(0)
	s_waitcnt_vscnt null, 0x0
	buffer_gl1_inv
	buffer_gl0_inv
	s_barrier
.LBB12_965:                             ;   in Loop: Header=BB12_107 Depth=1
	s_or_b32 exec_lo, exec_lo, s16
.LBB12_966:                             ;   in Loop: Header=BB12_107 Depth=1
	s_delay_alu instid0(SALU_CYCLE_1)
	s_or_b32 exec_lo, exec_lo, s15
	s_cbranch_execnz .LBB12_1217
; %bb.967:                              ;   in Loop: Header=BB12_107 Depth=1
	ds_load_b32 v10, v0
	v_and_b32_e32 v1, 0x4000, v48
	s_delay_alu instid0(VALU_DEP_1) | instskip(SKIP_1) | instid1(SALU_CYCLE_1)
	v_cmp_ne_u32_e32 vcc_lo, 0, v1
	s_and_b32 s16, s27, vcc_lo
	s_and_saveexec_b32 s15, s16
	s_cbranch_execz .LBB12_989
; %bb.968:                              ;   in Loop: Header=BB12_107 Depth=1
	s_and_saveexec_b32 s16, s4
	s_delay_alu instid0(SALU_CYCLE_1)
	s_xor_b32 s16, exec_lo, s16
	s_cbranch_execz .LBB12_986
; %bb.969:                              ;   in Loop: Header=BB12_107 Depth=1
	s_and_saveexec_b32 s30, s5
	s_cbranch_execz .LBB12_985
; %bb.970:                              ;   in Loop: Header=BB12_107 Depth=1
	s_mov_b32 s34, exec_lo
	s_mov_b32 s31, exec_lo
	v_mbcnt_lo_u32_b32 v1, s34, 0
	s_waitcnt lgkmcnt(0)
	s_waitcnt_vscnt null, 0x0
	buffer_gl1_inv
	buffer_gl0_inv
	v_cmpx_eq_u32_e32 0, v1
	s_cbranch_execz .LBB12_972
; %bb.971:                              ;   in Loop: Header=BB12_107 Depth=1
	s_bcnt1_i32_b32 vcc_lo, s34
	s_delay_alu instid0(SALU_CYCLE_1)
	v_mov_b32_e32 v1, vcc_lo
	ds_add_u64 v0, v[1:2]
	s_cbranch_execnz .LBB12_1364
.LBB12_972:                             ;   in Loop: Header=BB12_107 Depth=1
	s_or_b32 exec_lo, exec_lo, s31
	s_cbranch_execnz .LBB12_1340
; %bb.973:                              ;   in Loop: Header=BB12_107 Depth=1
	ds_load_b64 v[11:12], v0
	v_add_co_u32 v26, vcc_lo, v26, v54
	v_add_co_ci_u32_e32 v27, vcc_lo, 0, v27, vcc_lo
	s_mov_b32 s31, exec_lo
	s_waitcnt lgkmcnt(0)
	s_delay_alu instid0(VALU_DEP_1)
	v_cmpx_lt_u64_e64 v[11:12], v[26:27]
	s_cbranch_execz .LBB12_984
; %bb.974:                              ;   in Loop: Header=BB12_107 Depth=1
	s_mov_b32 s34, 0
	s_mov_b32 s37, 0
                                        ; implicit-def: $sgpr35
                                        ; implicit-def: $sgpr36
	s_branch .LBB12_976
.LBB12_975:                             ;   in Loop: Header=BB12_976 Depth=2
	s_or_b32 exec_lo, exec_lo, s39
	s_delay_alu instid0(SALU_CYCLE_1) | instskip(NEXT) | instid1(SALU_CYCLE_1)
	s_and_b32 vcc_lo, exec_lo, vcc_lo
	s_or_b32 s34, vcc_lo, s34
	s_and_not1_b32 vcc_lo, s35, exec_lo
	s_and_b32 s35, s36, exec_lo
	s_delay_alu instid0(SALU_CYCLE_1)
	s_or_b32 s35, vcc_lo, s35
	s_and_not1_b32 exec_lo, exec_lo, s34
	s_cbranch_execz .LBB12_982
.LBB12_976:                             ;   Parent Loop BB12_107 Depth=1
                                        ; =>  This Inner Loop Header: Depth=2
	s_add_i32 s37, s37, 1
                                        ; implicit-def: $sgpr39
	s_delay_alu instid0(SALU_CYCLE_1) | instskip(SKIP_1) | instid1(SALU_CYCLE_1)
	s_cmpk_lg_i32 s37, 0x2710
	s_cselect_b32 s38, -1, 0
	s_and_b32 vcc_lo, exec_lo, s38
	s_cbranch_vccz .LBB12_980
.LBB12_977:                             ;   in Loop: Header=BB12_976 Depth=2
	s_and_not1_b32 s36, s36, exec_lo
	s_and_b32 s39, s39, exec_lo
	s_mov_b32 vcc_lo, -1
	s_or_b32 s36, s36, s39
	s_and_saveexec_b32 s39, s38
	s_cbranch_execz .LBB12_975
; %bb.978:                              ;   in Loop: Header=BB12_976 Depth=2
	s_sleep 1
	s_cbranch_execnz .LBB12_1459
; %bb.979:                              ;   in Loop: Header=BB12_976 Depth=2
	ds_load_b64 v[11:12], v0
	s_and_not1_b32 s36, s36, exec_lo
	s_waitcnt lgkmcnt(0)
	v_cmp_ge_u64_e32 vcc_lo, v[11:12], v[26:27]
	s_or_not1_b32 vcc_lo, vcc_lo, exec_lo
	s_branch .LBB12_975
.LBB12_980:                             ;   in Loop: Header=BB12_976 Depth=2
	s_cbranch_execnz .LBB12_1475
; %bb.981:                              ;   in Loop: Header=BB12_976 Depth=2
	ds_load_b64 v[11:12], v0
	s_and_not1_b32 s38, s38, exec_lo
	s_mov_b32 s37, 0
	s_mov_b32 s39, -1
	s_waitcnt lgkmcnt(0)
	flat_load_b32 v1, v[11:12] glc
	s_waitcnt vmcnt(0) lgkmcnt(0)
	buffer_gl1_inv
	buffer_gl0_inv
	v_cmp_eq_u32_e32 vcc_lo, 0, v1
	s_and_b32 vcc_lo, vcc_lo, exec_lo
	s_delay_alu instid0(SALU_CYCLE_1)
	s_or_b32 s38, s38, vcc_lo
	s_branch .LBB12_977
.LBB12_982:                             ;   in Loop: Header=BB12_107 Depth=1
	s_or_b32 exec_lo, exec_lo, s34
	s_and_saveexec_b32 vcc_lo, s35
	s_delay_alu instid0(SALU_CYCLE_1)
	s_xor_b32 vcc_lo, exec_lo, vcc_lo
	s_cbranch_execz .LBB12_984
; %bb.983:                              ;   in Loop: Header=BB12_107 Depth=1
	ds_store_b32 v0, v99
	s_cbranch_execnz .LBB12_1573
.LBB12_984:                             ;   in Loop: Header=BB12_107 Depth=1
	s_or_b32 exec_lo, exec_lo, s31
	;;#ASMSTART
	s_wakeup
	;;#ASMEND
.LBB12_985:                             ;   in Loop: Header=BB12_107 Depth=1
	s_or_b32 exec_lo, exec_lo, s30
.LBB12_986:                             ;   in Loop: Header=BB12_107 Depth=1
	s_and_not1_saveexec_b32 s16, s16
	s_cbranch_execz .LBB12_988
; %bb.987:                              ;   in Loop: Header=BB12_107 Depth=1
	s_waitcnt lgkmcnt(0)
	s_waitcnt_vscnt null, 0x0
	buffer_gl1_inv
	buffer_gl0_inv
	s_barrier
.LBB12_988:                             ;   in Loop: Header=BB12_107 Depth=1
	s_or_b32 exec_lo, exec_lo, s16
.LBB12_989:                             ;   in Loop: Header=BB12_107 Depth=1
	s_delay_alu instid0(SALU_CYCLE_1)
	s_or_b32 exec_lo, exec_lo, s15
	s_cbranch_execnz .LBB12_1258
; %bb.990:                              ;   in Loop: Header=BB12_107 Depth=1
	ds_load_b64 v[11:12], v0
	s_waitcnt lgkmcnt(0)
	v_cmp_eq_u64_e32 vcc_lo, 0, v[11:12]
	s_or_b32 s15, vcc_lo, vcc_lo
	s_delay_alu instid0(SALU_CYCLE_1)
	s_and_b32 vcc_lo, exec_lo, s15
	s_mov_b32 s15, 0
	s_cbranch_vccnz .LBB12_1023
; %bb.991:                              ;   in Loop: Header=BB12_107 Depth=1
	s_mov_b32 s15, -1
	s_and_saveexec_b32 s16, s10
	s_cbranch_execz .LBB12_993
; %bb.992:                              ;   in Loop: Header=BB12_107 Depth=1
	ds_load_b32 v1, v0 offset:720
	s_waitcnt lgkmcnt(0)
	v_and_b32_e32 v1, 15, v1
	s_delay_alu instid0(VALU_DEP_1)
	v_cmp_eq_u32_e32 vcc_lo, 0, v1
	s_or_not1_b32 s15, vcc_lo, exec_lo
.LBB12_993:                             ;   in Loop: Header=BB12_107 Depth=1
	s_or_b32 exec_lo, exec_lo, s16
	s_and_saveexec_b32 s16, s6
	s_cbranch_execz .LBB12_995
; %bb.994:                              ;   in Loop: Header=BB12_107 Depth=1
	ds_load_b32 v1, v0 offset:784
	s_waitcnt lgkmcnt(0)
	v_and_b32_e32 v1, 15, v1
	s_delay_alu instid0(VALU_DEP_1) | instskip(SKIP_3) | instid1(SALU_CYCLE_1)
	v_cmp_eq_u32_e32 vcc_lo, 0, v1
	s_and_b32 vcc_lo, s15, vcc_lo
	s_and_not1_b32 s15, s15, exec_lo
	s_and_b32 vcc_lo, vcc_lo, exec_lo
	s_or_b32 s15, s15, vcc_lo
.LBB12_995:                             ;   in Loop: Header=BB12_107 Depth=1
	s_or_b32 exec_lo, exec_lo, s16
	v_cmp_eq_u32_e32 vcc_lo, 0, v10
	s_xor_b32 s15, s15, -1
	v_mov_b32_e32 v103, v51
	v_cndmask_b32_e64 v11, 0, 1, s15
	;;#ASMSTART
	;;#ASMEND
	v_dual_cndmask_b32 v1, 0, v36 :: v_dual_mov_b32 v38, 0
	s_delay_alu instid0(VALU_DEP_2) | instskip(SKIP_1) | instid1(VALU_DEP_2)
	v_cmp_ne_u32_e32 vcc_lo, 0, v11
	s_mov_b32 s15, -1
	v_dual_mov_b32 v100, v0 :: v_dual_mov_b32 v37, v1
	s_cbranch_vccnz .LBB12_1011
; %bb.996:                              ;   in Loop: Header=BB12_107 Depth=1
	v_ashrrev_i32_e32 v10, 31, v1
	s_mov_b32 s15, exec_lo
	s_delay_alu instid0(VALU_DEP_1) | instskip(NEXT) | instid1(VALU_DEP_1)
	v_lshrrev_b32_e32 v10, 20, v10
	v_add_nc_u32_e32 v10, v1, v10
	s_delay_alu instid0(VALU_DEP_1) | instskip(NEXT) | instid1(VALU_DEP_1)
	v_ashrrev_i32_e32 v37, 12, v10
	v_sub_nc_u32_e32 v101, v37, v51
	s_delay_alu instid0(VALU_DEP_1)
	v_cmpx_lt_i32_e32 0, v101
	s_cbranch_execz .LBB12_1001
; %bb.997:                              ;   in Loop: Header=BB12_107 Depth=1
	s_cbranch_execnz .LBB12_1390
; %bb.998:                              ;   in Loop: Header=BB12_107 Depth=1
	ds_load_b64 v[10:11], v0
	s_mov_b32 s16, 0
	s_waitcnt lgkmcnt(0)
	v_dual_mov_b32 v13, v11 :: v_dual_mov_b32 v12, v10
.LBB12_999:                             ;   Parent Loop BB12_107 Depth=1
                                        ; =>  This Inner Loop Header: Depth=2
	s_delay_alu instid0(VALU_DEP_1) | instskip(NEXT) | instid1(VALU_DEP_2)
	v_add_co_u32 v102, vcc_lo, v85, v12
	v_add_co_ci_u32_e32 v103, vcc_lo, v96, v13, vcc_lo
	v_sub_nc_u32_e32 v101, v101, v54
	s_clause 0x7
	global_load_b128 v[112:115], v[102:103], off slc dlc
	global_load_b128 v[116:119], v[102:103], off offset:512 slc dlc
	global_load_b128 v[128:131], v[102:103], off offset:1024 slc dlc
	;; [unrolled: 1-line block ×7, first 2 shown]
	v_add_co_u32 v102, vcc_lo, v85, v10
	v_add_co_ci_u32_e32 v103, vcc_lo, v96, v11, vcc_lo
	v_add_co_u32 v12, vcc_lo, v12, v97
	v_add_co_ci_u32_e32 v13, vcc_lo, v13, v98, vcc_lo
	v_add_co_u32 v10, vcc_lo, v10, v97
	v_add_co_ci_u32_e32 v11, vcc_lo, v11, v98, vcc_lo
	v_cmp_gt_i32_e32 vcc_lo, 1, v101
	s_waitcnt vmcnt(7)
	global_store_b128 v[102:103], v[112:115], off glc slc dlc
	s_waitcnt vmcnt(6)
	global_store_b128 v[102:103], v[116:119], off offset:512 glc slc dlc
	s_waitcnt vmcnt(5)
	global_store_b128 v[102:103], v[128:131], off offset:1024 glc slc dlc
	;; [unrolled: 2-line block ×7, first 2 shown]
	s_or_b32 s16, vcc_lo, s16
	s_delay_alu instid0(SALU_CYCLE_1)
	s_and_not1_b32 exec_lo, exec_lo, s16
	s_cbranch_execnz .LBB12_999
; %bb.1000:                             ;   in Loop: Header=BB12_107 Depth=1
	s_or_b32 exec_lo, exec_lo, s16
.LBB12_1001:                            ;   in Loop: Header=BB12_107 Depth=1
	s_delay_alu instid0(SALU_CYCLE_1) | instskip(SKIP_4) | instid1(VALU_DEP_2)
	s_or_b32 exec_lo, exec_lo, s15
	v_lshlrev_b32_e32 v12, 12, v37
	v_mov_b32_e32 v38, 0
	s_mov_b32 s15, 0
	s_mov_b32 s30, exec_lo
                                        ; implicit-def: $vgpr37
                                        ; implicit-def: $vgpr100
                                        ; implicit-def: $vgpr103
	v_cmpx_ne_u32_e64 v1, v12
	s_cbranch_execz .LBB12_1010
; %bb.1002:                             ;   in Loop: Header=BB12_107 Depth=1
	v_lshlrev_b32_e32 v10, 5, v101
	v_sub_nc_u32_e32 v37, v1, v12
	s_mov_b32 s31, exec_lo
	s_delay_alu instid0(VALU_DEP_2) | instskip(NEXT) | instid1(VALU_DEP_2)
	v_sub_nc_u32_e32 v10, v53, v10
	v_ashrrev_i32_e32 v13, 31, v37
	s_delay_alu instid0(VALU_DEP_2) | instskip(NEXT) | instid1(VALU_DEP_2)
	v_ashrrev_i32_e32 v11, 31, v10
	v_lshrrev_b32_e32 v13, 23, v13
	s_delay_alu instid0(VALU_DEP_2) | instskip(NEXT) | instid1(VALU_DEP_2)
	v_lshrrev_b32_e32 v11, 27, v11
	v_add_nc_u32_e32 v100, v37, v13
	s_delay_alu instid0(VALU_DEP_2) | instskip(NEXT) | instid1(VALU_DEP_2)
	v_add_nc_u32_e32 v11, v10, v11
	v_and_b32_e32 v13, 0xfffffe00, v100
	v_ashrrev_i32_e32 v100, 9, v100
	s_delay_alu instid0(VALU_DEP_3) | instskip(NEXT) | instid1(VALU_DEP_3)
	v_and_b32_e32 v38, 0xffffffe0, v11
	v_sub_nc_u32_e32 v102, v37, v13
	s_delay_alu instid0(VALU_DEP_2) | instskip(SKIP_1) | instid1(VALU_DEP_3)
	v_sub_nc_u32_e32 v101, v10, v38
	v_ashrrev_i32_e32 v10, 5, v11
	v_cmp_lt_i32_e32 vcc_lo, 15, v102
	s_delay_alu instid0(VALU_DEP_3) | instskip(NEXT) | instid1(VALU_DEP_1)
	v_lshlrev_b32_e32 v11, 4, v101
	v_lshl_add_u32 v38, v10, 9, v11
	v_add_co_ci_u32_e64 v11, s15, 0, v100, vcc_lo
	s_delay_alu instid0(VALU_DEP_2) | instskip(NEXT) | instid1(VALU_DEP_2)
	v_sub_nc_u32_e32 v37, v37, v38
	v_sub_nc_u32_e32 v112, v11, v10
	s_delay_alu instid0(VALU_DEP_2)
	v_cmpx_lt_i32_e32 15, v37
	s_cbranch_execz .LBB12_1007
; %bb.1003:                             ;   in Loop: Header=BB12_107 Depth=1
	s_cbranch_execnz .LBB12_1483
; %bb.1004:                             ;   in Loop: Header=BB12_107 Depth=1
	ds_load_b64 v[10:11], v0
	v_add_nc_u32_e32 v38, v38, v12
	s_mov_b32 s34, 0
	s_delay_alu instid0(VALU_DEP_1)
	v_ashrrev_i32_e32 v100, 31, v38
.LBB12_1005:                            ;   Parent Loop BB12_107 Depth=1
                                        ; =>  This Inner Loop Header: Depth=2
	s_waitcnt lgkmcnt(0)
	v_add_co_u32 v117, s15, v10, v38
	s_delay_alu instid0(VALU_DEP_1)
	v_add_co_ci_u32_e64 v118, s15, v11, v100, s15
	v_sub_nc_u32_e32 v37, v37, v64
	v_add_co_u32 v38, s16, v38, v71
	global_load_b128 v[113:116], v[117:118], off slc dlc
	v_sub_nc_u32_e32 v112, v112, v54
	v_cmp_gt_i32_e64 s15, 16, v37
	v_add_co_ci_u32_e64 v100, s16, v100, v80, s16
	s_delay_alu instid0(VALU_DEP_2)
	s_or_b32 s34, s15, s34
	s_waitcnt vmcnt(0)
	global_store_b128 v[117:118], v[113:116], off glc slc dlc
	s_and_not1_b32 exec_lo, exec_lo, s34
	s_cbranch_execnz .LBB12_1005
; %bb.1006:                             ;   in Loop: Header=BB12_107 Depth=1
	s_or_b32 exec_lo, exec_lo, s34
.LBB12_1007:                            ;   in Loop: Header=BB12_107 Depth=1
	s_delay_alu instid0(SALU_CYCLE_1) | instskip(SKIP_3) | instid1(VALU_DEP_1)
	s_or_b32 exec_lo, exec_lo, s31
	v_and_b32_e32 v10, 15, v1
	s_mov_b32 s16, 0
	s_mov_b32 s31, exec_lo
                                        ; implicit-def: $vgpr100
                                        ; implicit-def: $vgpr103
	v_dual_mov_b32 v38, 0 :: v_dual_cndmask_b32 v37, v102, v10
	s_delay_alu instid0(VALU_DEP_1)
	v_cmpx_ne_u32_e32 0, v37
; %bb.1008:                             ;   in Loop: Header=BB12_107 Depth=1
	v_cmp_lt_i32_e64 s15, 0, v112
	v_sub_nc_u32_e32 v10, v102, v10
	s_mov_b32 s16, exec_lo
	s_delay_alu instid0(VALU_DEP_2) | instskip(NEXT) | instid1(VALU_DEP_1)
	v_cndmask_b32_e64 v11, 0, v54, s15
	v_sub_nc_u32_e32 v11, v11, v112
	s_delay_alu instid0(VALU_DEP_1) | instskip(NEXT) | instid1(VALU_DEP_1)
	v_lshl_add_u32 v100, v11, 5, v101
	v_ashrrev_i32_e32 v11, 31, v100
	s_delay_alu instid0(VALU_DEP_1) | instskip(NEXT) | instid1(VALU_DEP_1)
	v_lshrrev_b32_e32 v11, 27, v11
	v_dual_cndmask_b32 v10, 0, v10 :: v_dual_add_nc_u32 v11, v100, v11
	s_delay_alu instid0(VALU_DEP_1) | instskip(NEXT) | instid1(VALU_DEP_2)
	v_add3_u32 v38, v13, v12, v10
	v_ashrrev_i32_e32 v103, 5, v11
; %bb.1009:                             ;   in Loop: Header=BB12_107 Depth=1
	s_or_b32 exec_lo, exec_lo, s31
	s_delay_alu instid0(SALU_CYCLE_1)
	s_and_b32 s15, s16, exec_lo
.LBB12_1010:                            ;   in Loop: Header=BB12_107 Depth=1
	s_or_b32 exec_lo, exec_lo, s30
.LBB12_1011:                            ;   in Loop: Header=BB12_107 Depth=1
	s_and_saveexec_b32 s16, s15
	s_cbranch_execz .LBB12_1022
; %bb.1012:                             ;   in Loop: Header=BB12_107 Depth=1
	s_delay_alu instid0(VALU_DEP_1) | instskip(SKIP_1) | instid1(VALU_DEP_1)
	v_ashrrev_i32_e32 v10, 31, v37
	s_mov_b32 s15, exec_lo
	v_lshrrev_b32_e32 v10, 22, v10
	s_delay_alu instid0(VALU_DEP_1) | instskip(NEXT) | instid1(VALU_DEP_1)
	v_add_nc_u32_e32 v10, v37, v10
	v_ashrrev_i32_e32 v102, 10, v10
	s_delay_alu instid0(VALU_DEP_1) | instskip(NEXT) | instid1(VALU_DEP_1)
	v_sub_nc_u32_e32 v101, v102, v103
	v_cmpx_lt_i32_e32 0, v101
	s_cbranch_execz .LBB12_1017
; %bb.1013:                             ;   in Loop: Header=BB12_107 Depth=1
	s_cbranch_execnz .LBB12_1378
; %bb.1014:                             ;   in Loop: Header=BB12_107 Depth=1
	v_ashrrev_i32_e32 v10, 31, v100
	s_mov_b32 s30, 0
	s_delay_alu instid0(VALU_DEP_1) | instskip(NEXT) | instid1(VALU_DEP_1)
	v_lshrrev_b32_e32 v10, 27, v10
	v_add_nc_u32_e32 v12, v100, v10
	ds_load_b64 v[10:11], v0
	v_lshlrev_b32_e32 v13, 10, v103
	v_and_b32_e32 v12, 0xffffffe0, v12
	s_delay_alu instid0(VALU_DEP_1) | instskip(NEXT) | instid1(VALU_DEP_1)
	v_sub_nc_u32_e32 v12, v100, v12
	v_add3_u32 v103, v38, v12, v13
	s_delay_alu instid0(VALU_DEP_1)
	v_ashrrev_i32_e32 v112, 31, v103
	s_waitcnt lgkmcnt(0)
	v_dual_mov_b32 v13, v11 :: v_dual_mov_b32 v12, v10
.LBB12_1015:                            ;   Parent Loop BB12_107 Depth=1
                                        ; =>  This Inner Loop Header: Depth=2
	s_delay_alu instid0(VALU_DEP_1) | instskip(NEXT) | instid1(VALU_DEP_2)
	v_add_co_u32 v113, vcc_lo, v103, v12
	v_add_co_ci_u32_e32 v114, vcc_lo, v112, v13, vcc_lo
	v_sub_nc_u32_e32 v101, v101, v54
	s_clause 0x1f
	flat_load_u8 v115, v[113:114] slc dlc
	flat_load_u8 v116, v[113:114] offset:32 slc dlc
	flat_load_u8 v117, v[113:114] offset:64 slc dlc
	;; [unrolled: 1-line block ×31, first 2 shown]
	v_add_co_u32 v113, vcc_lo, v103, v10
	v_add_co_ci_u32_e32 v114, vcc_lo, v112, v11, vcc_lo
	v_add_co_u32 v12, vcc_lo, v12, v82
	v_add_co_ci_u32_e32 v13, vcc_lo, v13, v83, vcc_lo
	;; [unrolled: 2-line block ×3, first 2 shown]
	v_cmp_gt_i32_e32 vcc_lo, 1, v101
	s_waitcnt vmcnt(31) lgkmcnt(31)
	flat_store_b8 v[113:114], v115 glc slc dlc
	s_waitcnt vmcnt(30) lgkmcnt(31)
	flat_store_b8 v[113:114], v116 offset:32 glc slc dlc
	s_waitcnt vmcnt(29) lgkmcnt(31)
	flat_store_b8 v[113:114], v117 offset:64 glc slc dlc
	;; [unrolled: 2-line block ×31, first 2 shown]
	s_or_b32 s30, vcc_lo, s30
	s_delay_alu instid0(SALU_CYCLE_1)
	s_and_not1_b32 exec_lo, exec_lo, s30
	s_cbranch_execnz .LBB12_1015
; %bb.1016:                             ;   in Loop: Header=BB12_107 Depth=1
	s_or_b32 exec_lo, exec_lo, s30
.LBB12_1017:                            ;   in Loop: Header=BB12_107 Depth=1
	s_delay_alu instid0(SALU_CYCLE_1) | instskip(SKIP_1) | instid1(VALU_DEP_1)
	s_or_b32 exec_lo, exec_lo, s15
	v_lshlrev_b32_e32 v10, 10, v102
	v_cmp_ne_u32_e32 vcc_lo, v37, v10
	s_and_b32 exec_lo, exec_lo, vcc_lo
	s_cbranch_execz .LBB12_1022
; %bb.1018:                             ;   in Loop: Header=BB12_107 Depth=1
	v_ashrrev_i32_e32 v11, 31, v100
	v_lshlrev_b32_e32 v12, 5, v101
	s_delay_alu instid0(VALU_DEP_2) | instskip(NEXT) | instid1(VALU_DEP_1)
	v_lshrrev_b32_e32 v11, 27, v11
	v_add_nc_u32_e32 v11, v100, v11
	s_delay_alu instid0(VALU_DEP_1) | instskip(NEXT) | instid1(VALU_DEP_1)
	v_and_b32_e32 v11, 0xffffffe0, v11
	v_sub_nc_u32_e32 v11, v100, v11
	s_delay_alu instid0(VALU_DEP_1) | instskip(NEXT) | instid1(VALU_DEP_1)
	v_sub_nc_u32_e32 v11, v11, v12
	v_add_nc_u32_e32 v13, v10, v11
	s_delay_alu instid0(VALU_DEP_1) | instskip(NEXT) | instid1(VALU_DEP_1)
	v_sub_nc_u32_e32 v12, v37, v13
	v_cmp_lt_i32_e32 vcc_lo, 0, v12
	s_and_b32 exec_lo, exec_lo, vcc_lo
	s_cbranch_execz .LBB12_1022
; %bb.1019:                             ;   in Loop: Header=BB12_107 Depth=1
	s_cbranch_execnz .LBB12_1481
; %bb.1020:                             ;   in Loop: Header=BB12_107 Depth=1
	ds_load_b64 v[10:11], v0
	v_add_nc_u32_e32 v13, v13, v38
	s_mov_b32 s30, 0
	s_delay_alu instid0(VALU_DEP_1)
	v_ashrrev_i32_e32 v37, 31, v13
.LBB12_1021:                            ;   Parent Loop BB12_107 Depth=1
                                        ; =>  This Inner Loop Header: Depth=2
	s_waitcnt lgkmcnt(0)
	v_add_co_u32 v100, vcc_lo, v10, v13
	s_delay_alu instid0(VALU_DEP_2)
	v_add_co_ci_u32_e32 v101, vcc_lo, v11, v37, vcc_lo
	v_sub_nc_u32_e32 v12, v12, v70
	v_add_co_u32 v13, s15, v13, v86
	flat_load_u8 v38, v[100:101] slc dlc
	v_add_co_ci_u32_e64 v37, s15, v37, v87, s15
	v_cmp_gt_i32_e32 vcc_lo, 1, v12
	s_or_b32 s30, vcc_lo, s30
	s_waitcnt vmcnt(0) lgkmcnt(0)
	flat_store_b8 v[100:101], v38 glc slc dlc
	s_and_not1_b32 exec_lo, exec_lo, s30
	s_cbranch_execnz .LBB12_1021
.LBB12_1022:                            ;   in Loop: Header=BB12_107 Depth=1
	s_or_b32 exec_lo, exec_lo, s16
	v_cmp_lt_i32_e64 s15, 0, v1
.LBB12_1023:                            ;   in Loop: Header=BB12_107 Depth=1
	s_and_saveexec_b32 s16, s3
	s_cbranch_execz .LBB12_1045
; %bb.1024:                             ;   in Loop: Header=BB12_107 Depth=1
	s_and_saveexec_b32 vcc_lo, s4
	s_delay_alu instid0(SALU_CYCLE_1)
	s_xor_b32 s30, exec_lo, vcc_lo
	s_cbranch_execz .LBB12_1042
; %bb.1025:                             ;   in Loop: Header=BB12_107 Depth=1
	s_and_saveexec_b32 s31, s5
	s_cbranch_execz .LBB12_1041
; %bb.1026:                             ;   in Loop: Header=BB12_107 Depth=1
	s_mov_b32 s35, exec_lo
	s_mov_b32 s34, exec_lo
	v_mbcnt_lo_u32_b32 v1, s35, 0
	s_waitcnt lgkmcnt(0)
	s_waitcnt_vscnt null, 0x0
	buffer_gl1_inv
	buffer_gl0_inv
	v_cmpx_eq_u32_e32 0, v1
	s_cbranch_execz .LBB12_1028
; %bb.1027:                             ;   in Loop: Header=BB12_107 Depth=1
	s_bcnt1_i32_b32 vcc_lo, s35
	s_delay_alu instid0(SALU_CYCLE_1)
	v_mov_b32_e32 v1, vcc_lo
	ds_add_u64 v0, v[1:2]
	s_cbranch_execnz .LBB12_1465
.LBB12_1028:                            ;   in Loop: Header=BB12_107 Depth=1
	s_or_b32 exec_lo, exec_lo, s34
	s_cbranch_execnz .LBB12_1408
; %bb.1029:                             ;   in Loop: Header=BB12_107 Depth=1
	ds_load_b64 v[10:11], v0
	v_add_co_u32 v26, vcc_lo, v26, v54
	v_add_co_ci_u32_e32 v27, vcc_lo, 0, v27, vcc_lo
	s_mov_b32 s34, exec_lo
	s_waitcnt lgkmcnt(0)
	s_delay_alu instid0(VALU_DEP_1)
	v_cmpx_lt_u64_e64 v[10:11], v[26:27]
	s_cbranch_execz .LBB12_1040
; %bb.1030:                             ;   in Loop: Header=BB12_107 Depth=1
	s_mov_b32 s35, 0
	s_mov_b32 s38, 0
                                        ; implicit-def: $sgpr36
                                        ; implicit-def: $sgpr37
	s_branch .LBB12_1032
.LBB12_1031:                            ;   in Loop: Header=BB12_1032 Depth=2
	s_or_b32 exec_lo, exec_lo, s40
	s_delay_alu instid0(SALU_CYCLE_1) | instskip(NEXT) | instid1(SALU_CYCLE_1)
	s_and_b32 vcc_lo, exec_lo, vcc_lo
	s_or_b32 s35, vcc_lo, s35
	s_and_not1_b32 vcc_lo, s36, exec_lo
	s_and_b32 s36, s37, exec_lo
	s_delay_alu instid0(SALU_CYCLE_1)
	s_or_b32 s36, vcc_lo, s36
	s_and_not1_b32 exec_lo, exec_lo, s35
	s_cbranch_execz .LBB12_1038
.LBB12_1032:                            ;   Parent Loop BB12_107 Depth=1
                                        ; =>  This Inner Loop Header: Depth=2
	s_add_i32 s38, s38, 1
                                        ; implicit-def: $sgpr40
	s_delay_alu instid0(SALU_CYCLE_1) | instskip(SKIP_1) | instid1(SALU_CYCLE_1)
	s_cmpk_lg_i32 s38, 0x2710
	s_cselect_b32 s39, -1, 0
	s_and_b32 vcc_lo, exec_lo, s39
	s_cbranch_vccz .LBB12_1036
.LBB12_1033:                            ;   in Loop: Header=BB12_1032 Depth=2
	s_and_not1_b32 s37, s37, exec_lo
	s_and_b32 s40, s40, exec_lo
	s_mov_b32 vcc_lo, -1
	s_or_b32 s37, s37, s40
	s_and_saveexec_b32 s40, s39
	s_cbranch_execz .LBB12_1031
; %bb.1034:                             ;   in Loop: Header=BB12_1032 Depth=2
	s_sleep 1
	s_cbranch_execnz .LBB12_1507
; %bb.1035:                             ;   in Loop: Header=BB12_1032 Depth=2
	ds_load_b64 v[10:11], v0
	s_and_not1_b32 s37, s37, exec_lo
	s_waitcnt lgkmcnt(0)
	v_cmp_ge_u64_e32 vcc_lo, v[10:11], v[26:27]
	s_or_not1_b32 vcc_lo, vcc_lo, exec_lo
	s_branch .LBB12_1031
.LBB12_1036:                            ;   in Loop: Header=BB12_1032 Depth=2
	s_cbranch_execnz .LBB12_1527
; %bb.1037:                             ;   in Loop: Header=BB12_1032 Depth=2
	ds_load_b64 v[10:11], v0
	s_and_not1_b32 s39, s39, exec_lo
	s_mov_b32 s38, 0
	s_mov_b32 s40, -1
	s_waitcnt lgkmcnt(0)
	flat_load_b32 v1, v[10:11] glc
	s_waitcnt vmcnt(0) lgkmcnt(0)
	buffer_gl1_inv
	buffer_gl0_inv
	v_cmp_eq_u32_e32 vcc_lo, 0, v1
	s_and_b32 vcc_lo, vcc_lo, exec_lo
	s_delay_alu instid0(SALU_CYCLE_1)
	s_or_b32 s39, s39, vcc_lo
	s_branch .LBB12_1033
.LBB12_1038:                            ;   in Loop: Header=BB12_107 Depth=1
	s_or_b32 exec_lo, exec_lo, s35
	s_and_saveexec_b32 vcc_lo, s36
	s_delay_alu instid0(SALU_CYCLE_1)
	s_xor_b32 vcc_lo, exec_lo, vcc_lo
	s_cbranch_execz .LBB12_1040
; %bb.1039:                             ;   in Loop: Header=BB12_107 Depth=1
	ds_store_b32 v0, v99
	s_cbranch_execnz .LBB12_1587
.LBB12_1040:                            ;   in Loop: Header=BB12_107 Depth=1
	s_or_b32 exec_lo, exec_lo, s34
	;;#ASMSTART
	s_wakeup
	;;#ASMEND
.LBB12_1041:                            ;   in Loop: Header=BB12_107 Depth=1
	s_or_b32 exec_lo, exec_lo, s31
.LBB12_1042:                            ;   in Loop: Header=BB12_107 Depth=1
	s_and_not1_saveexec_b32 vcc_lo, s30
	s_cbranch_execz .LBB12_1044
; %bb.1043:                             ;   in Loop: Header=BB12_107 Depth=1
	s_waitcnt lgkmcnt(0)
	s_waitcnt_vscnt null, 0x0
	buffer_gl1_inv
	buffer_gl0_inv
	s_barrier
.LBB12_1044:                            ;   in Loop: Header=BB12_107 Depth=1
	s_or_b32 exec_lo, exec_lo, vcc_lo
.LBB12_1045:                            ;   in Loop: Header=BB12_107 Depth=1
	s_delay_alu instid0(SALU_CYCLE_1) | instskip(SKIP_1) | instid1(SALU_CYCLE_1)
	s_or_b32 exec_lo, exec_lo, s16
                                        ; implicit-def: $vgpr1
	s_and_saveexec_b32 s16, s11
	s_xor_b32 s16, exec_lo, s16
	s_cbranch_execz .LBB12_1049
; %bb.1046:                             ;   in Loop: Header=BB12_107 Depth=1
	v_and_b32_e32 v1, 16, v48
	s_delay_alu instid0(VALU_DEP_1) | instskip(SKIP_2) | instid1(SALU_CYCLE_1)
	v_cmp_ne_u32_e32 vcc_lo, 0, v1
	v_and_b32_e32 v1, 16, v48
	s_and_b32 vcc_lo, vcc_lo, s15
	s_and_saveexec_b32 s15, vcc_lo
	s_cbranch_execz .LBB12_1048
; %bb.1047:                             ;   in Loop: Header=BB12_107 Depth=1
	v_mov_b32_e32 v1, 1
	s_waitcnt lgkmcnt(0)
	s_waitcnt_vscnt null, 0x0
	buffer_gl1_inv
	buffer_gl0_inv
.LBB12_1048:                            ;   in Loop: Header=BB12_107 Depth=1
	s_or_b32 exec_lo, exec_lo, s15
.LBB12_1049:                            ;   in Loop: Header=BB12_107 Depth=1
	s_and_not1_saveexec_b32 s15, s16
	s_cbranch_execz .LBB12_1071
; %bb.1050:                             ;   in Loop: Header=BB12_107 Depth=1
	s_and_saveexec_b32 s16, s4
	s_delay_alu instid0(SALU_CYCLE_1)
	s_xor_b32 s16, exec_lo, s16
	s_cbranch_execz .LBB12_1068
; %bb.1051:                             ;   in Loop: Header=BB12_107 Depth=1
	s_and_saveexec_b32 s30, s5
	s_cbranch_execz .LBB12_1067
; %bb.1052:                             ;   in Loop: Header=BB12_107 Depth=1
	s_mov_b32 s34, exec_lo
	s_mov_b32 s31, exec_lo
	v_mbcnt_lo_u32_b32 v1, s34, 0
	;;#ASMSTART
	s_waitcnt lgkmcnt(0) vmcnt(0)
	;;#ASMEND
	s_delay_alu instid0(VALU_DEP_1)
	v_cmpx_eq_u32_e32 0, v1
	s_cbranch_execz .LBB12_1054
; %bb.1053:                             ;   in Loop: Header=BB12_107 Depth=1
	s_bcnt1_i32_b32 vcc_lo, s34
	s_delay_alu instid0(SALU_CYCLE_1)
	v_mov_b32_e32 v1, vcc_lo
	ds_add_u64 v0, v[1:2]
	s_cbranch_execnz .LBB12_1471
.LBB12_1054:                            ;   in Loop: Header=BB12_107 Depth=1
	s_or_b32 exec_lo, exec_lo, s31
	s_cbranch_execnz .LBB12_1420
; %bb.1055:                             ;   in Loop: Header=BB12_107 Depth=1
	ds_load_b64 v[10:11], v0
	v_add_co_u32 v26, vcc_lo, v26, v54
	v_add_co_ci_u32_e32 v27, vcc_lo, 0, v27, vcc_lo
	s_mov_b32 s31, exec_lo
	s_waitcnt lgkmcnt(0)
	s_delay_alu instid0(VALU_DEP_1)
	v_cmpx_lt_u64_e64 v[10:11], v[26:27]
	s_cbranch_execz .LBB12_1066
; %bb.1056:                             ;   in Loop: Header=BB12_107 Depth=1
	s_mov_b32 s34, 0
	s_mov_b32 s37, 0
                                        ; implicit-def: $sgpr35
                                        ; implicit-def: $sgpr36
	s_branch .LBB12_1058
.LBB12_1057:                            ;   in Loop: Header=BB12_1058 Depth=2
	s_or_b32 exec_lo, exec_lo, s39
	s_delay_alu instid0(SALU_CYCLE_1) | instskip(NEXT) | instid1(SALU_CYCLE_1)
	s_and_b32 vcc_lo, exec_lo, vcc_lo
	s_or_b32 s34, vcc_lo, s34
	s_and_not1_b32 vcc_lo, s35, exec_lo
	s_and_b32 s35, s36, exec_lo
	s_delay_alu instid0(SALU_CYCLE_1)
	s_or_b32 s35, vcc_lo, s35
	s_and_not1_b32 exec_lo, exec_lo, s34
	s_cbranch_execz .LBB12_1064
.LBB12_1058:                            ;   Parent Loop BB12_107 Depth=1
                                        ; =>  This Inner Loop Header: Depth=2
	s_add_i32 s37, s37, 1
                                        ; implicit-def: $sgpr39
	s_delay_alu instid0(SALU_CYCLE_1) | instskip(SKIP_1) | instid1(SALU_CYCLE_1)
	s_cmpk_lg_i32 s37, 0x2710
	s_cselect_b32 s38, -1, 0
	s_and_b32 vcc_lo, exec_lo, s38
	s_cbranch_vccz .LBB12_1062
.LBB12_1059:                            ;   in Loop: Header=BB12_1058 Depth=2
	s_and_not1_b32 s36, s36, exec_lo
	s_and_b32 s39, s39, exec_lo
	s_mov_b32 vcc_lo, -1
	s_or_b32 s36, s36, s39
	s_and_saveexec_b32 s39, s38
	s_cbranch_execz .LBB12_1057
; %bb.1060:                             ;   in Loop: Header=BB12_1058 Depth=2
	s_sleep 1
	s_cbranch_execnz .LBB12_1515
; %bb.1061:                             ;   in Loop: Header=BB12_1058 Depth=2
	ds_load_b64 v[10:11], v0
	s_and_not1_b32 s36, s36, exec_lo
	s_waitcnt lgkmcnt(0)
	v_cmp_ge_u64_e32 vcc_lo, v[10:11], v[26:27]
	s_or_not1_b32 vcc_lo, vcc_lo, exec_lo
	s_branch .LBB12_1057
.LBB12_1062:                            ;   in Loop: Header=BB12_1058 Depth=2
	s_cbranch_execnz .LBB12_1533
; %bb.1063:                             ;   in Loop: Header=BB12_1058 Depth=2
	ds_load_b64 v[10:11], v0
	s_and_not1_b32 s38, s38, exec_lo
	s_mov_b32 s37, 0
	s_mov_b32 s39, -1
	s_waitcnt lgkmcnt(0)
	s_waitcnt_vscnt null, 0x0
	flat_load_b32 v1, v[10:11] glc
	s_waitcnt vmcnt(0) lgkmcnt(0)
	buffer_gl1_inv
	buffer_gl0_inv
	v_cmp_eq_u32_e32 vcc_lo, 0, v1
	s_and_b32 vcc_lo, vcc_lo, exec_lo
	s_delay_alu instid0(SALU_CYCLE_1)
	s_or_b32 s38, s38, vcc_lo
	s_branch .LBB12_1059
.LBB12_1064:                            ;   in Loop: Header=BB12_107 Depth=1
	s_or_b32 exec_lo, exec_lo, s34
	s_and_saveexec_b32 vcc_lo, s35
	s_delay_alu instid0(SALU_CYCLE_1)
	s_xor_b32 vcc_lo, exec_lo, vcc_lo
	s_cbranch_execz .LBB12_1066
; %bb.1065:                             ;   in Loop: Header=BB12_107 Depth=1
	ds_store_b32 v0, v99
	s_cbranch_execnz .LBB12_1589
.LBB12_1066:                            ;   in Loop: Header=BB12_107 Depth=1
	s_or_b32 exec_lo, exec_lo, s31
	;;#ASMSTART
	s_wakeup
	;;#ASMEND
.LBB12_1067:                            ;   in Loop: Header=BB12_107 Depth=1
	s_or_b32 exec_lo, exec_lo, s30
.LBB12_1068:                            ;   in Loop: Header=BB12_107 Depth=1
	s_and_not1_saveexec_b32 s16, s16
	s_cbranch_execz .LBB12_1070
; %bb.1069:                             ;   in Loop: Header=BB12_107 Depth=1
	;;#ASMSTART
	s_waitcnt lgkmcnt(0) vmcnt(0)
	;;#ASMEND
	s_waitcnt lgkmcnt(0)
	s_waitcnt_vscnt null, 0x0
	s_barrier
.LBB12_1070:                            ;   in Loop: Header=BB12_107 Depth=1
	s_or_b32 exec_lo, exec_lo, s16
	v_and_b32_e32 v1, 16, v48
.LBB12_1071:                            ;   in Loop: Header=BB12_107 Depth=1
	s_or_b32 exec_lo, exec_lo, s15
	s_delay_alu instid0(SALU_CYCLE_1) | instskip(NEXT) | instid1(VALU_DEP_1)
	s_mov_b32 s15, exec_lo
	v_cmpx_ne_u32_e32 0, v1
	s_cbranch_execz .LBB12_1075
; %bb.1072:                             ;   in Loop: Header=BB12_107 Depth=1
	s_and_saveexec_b32 s16, s13
	s_cbranch_execz .LBB12_1074
; %bb.1073:                             ;   in Loop: Header=BB12_107 Depth=1
	s_waitcnt lgkmcnt(0)
	s_waitcnt_vscnt null, 0x0
	flat_store_b32 v[24:25], v99
.LBB12_1074:                            ;   in Loop: Header=BB12_107 Depth=1
	s_or_b32 exec_lo, exec_lo, s16
	v_add_co_u32 v8, vcc_lo, v8, 1
	v_add_co_ci_u32_e32 v9, vcc_lo, 0, v9, vcc_lo
	s_waitcnt lgkmcnt(0)
	s_waitcnt_vscnt null, 0x0
	flat_store_b64 v[20:21], v[8:9]
.LBB12_1075:                            ;   in Loop: Header=BB12_107 Depth=1
	s_or_b32 exec_lo, exec_lo, s15
	v_mov_b32_e32 v12, v36
.LBB12_1076:                            ;   in Loop: Header=BB12_107 Depth=1
	s_or_b32 exec_lo, exec_lo, vcc_hi
	s_mov_b32 s16, s18
	s_mov_b32 vcc_lo, s17
	s_and_saveexec_b32 s15, s14
	s_cbranch_execz .LBB12_1153
; %bb.1077:                             ;   in Loop: Header=BB12_107 Depth=1
	v_and_b32_e32 v1, 8, v48
	s_mov_b32 s16, -1
	s_mov_b32 s14, exec_lo
	s_delay_alu instid0(VALU_DEP_1)
	v_cmpx_ne_u32_e32 0, v1
	s_cbranch_execz .LBB12_1091
; %bb.1078:                             ;   in Loop: Header=BB12_107 Depth=1
	v_add_co_u32 v37, vcc_lo, v28, 8
	v_add_co_ci_u32_e32 v38, vcc_lo, 0, v29, vcc_lo
	v_add_co_u32 v10, vcc_lo, v8, 1
	v_add_co_ci_u32_e32 v11, vcc_lo, 0, v9, vcc_lo
	v_mov_b32_e32 v1, 1
	s_mov_b32 s16, exec_lo
	s_delay_alu instid0(VALU_DEP_2)
	v_cmpx_lt_u64_e64 v[37:38], v[10:11]
	s_cbranch_execz .LBB12_1090
; %bb.1079:                             ;   in Loop: Header=BB12_107 Depth=1
	v_mov_b32_e32 v1, 0
	s_mov_b32 vcc_hi, 0
                                        ; implicit-def: $sgpr30
	s_branch .LBB12_1083
.LBB12_1080:                            ;   in Loop: Header=BB12_1083 Depth=2
	s_or_b32 exec_lo, exec_lo, s36
	v_mov_b32_e32 v13, 0
	s_or_not1_b32 s35, s35, exec_lo
.LBB12_1081:                            ;   in Loop: Header=BB12_1083 Depth=2
	s_or_b32 exec_lo, exec_lo, s34
	s_delay_alu instid0(VALU_DEP_1) | instskip(SKIP_2) | instid1(SALU_CYCLE_1)
	v_mov_b32_e32 v1, v13
	s_and_not1_b32 vcc_lo, s30, exec_lo
	s_and_b32 s30, s35, exec_lo
	s_or_b32 s30, vcc_lo, s30
.LBB12_1082:                            ;   in Loop: Header=BB12_1083 Depth=2
	s_or_b32 exec_lo, exec_lo, s31
	s_waitcnt vmcnt(0) lgkmcnt(0)
	v_add_co_u32 v37, vcc_lo, v28, 8
	v_add_co_ci_u32_e32 v38, vcc_lo, 0, v29, vcc_lo
	s_xor_b32 s31, s30, -1
	s_delay_alu instid0(VALU_DEP_1) | instskip(SKIP_1) | instid1(SALU_CYCLE_1)
	v_cmp_ge_u64_e32 vcc_lo, v[37:38], v[10:11]
	s_or_b32 vcc_lo, s31, vcc_lo
	s_and_b32 vcc_lo, exec_lo, vcc_lo
	s_delay_alu instid0(SALU_CYCLE_1) | instskip(NEXT) | instid1(SALU_CYCLE_1)
	s_or_b32 vcc_hi, vcc_lo, vcc_hi
	s_and_not1_b32 exec_lo, exec_lo, vcc_hi
	s_cbranch_execz .LBB12_1089
.LBB12_1083:                            ;   Parent Loop BB12_107 Depth=1
                                        ; =>  This Inner Loop Header: Depth=2
	s_sleep 1
	flat_load_b64 v[28:29], v[20:21] glc
	v_and_b32_e32 v13, 64, v48
	s_and_not1_b32 s30, s30, exec_lo
	s_mov_b32 s31, exec_lo
	s_delay_alu instid0(VALU_DEP_1)
	v_cmpx_eq_u32_e32 0, v13
	s_cbranch_execz .LBB12_1082
; %bb.1084:                             ;   in Loop: Header=BB12_1083 Depth=2
	v_add_nc_u32_e32 v13, 1, v1
	s_mov_b32 s35, -1
	s_mov_b32 s34, exec_lo
	v_cmpx_lt_i32_e32 0x270e, v1
	s_cbranch_execz .LBB12_1081
; %bb.1085:                             ;   in Loop: Header=BB12_1083 Depth=2
	s_cbranch_execnz .LBB12_1262
; %bb.1086:                             ;   in Loop: Header=BB12_1083 Depth=2
	ds_load_b64 v[37:38], v0
	s_mov_b32 s36, exec_lo
	s_waitcnt vmcnt(0) lgkmcnt(0)
	s_waitcnt_vscnt null, 0x0
	flat_load_b32 v1, v[37:38] glc
	s_waitcnt vmcnt(0) lgkmcnt(0)
	buffer_gl1_inv
	buffer_gl0_inv
	v_cmpx_ne_u32_e32 0, v1
	s_cbranch_execz .LBB12_1080
; %bb.1087:                             ;   in Loop: Header=BB12_1083 Depth=2
	ds_store_b32 v0, v1
	s_cbranch_execnz .LBB12_1308
; %bb.1088:                             ;   in Loop: Header=BB12_1083 Depth=2
	v_or_b32_e32 v48, 64, v48
	s_xor_b32 s35, exec_lo, -1
	s_branch .LBB12_1080
.LBB12_1089:                            ;   in Loop: Header=BB12_107 Depth=1
	s_or_b32 exec_lo, exec_lo, vcc_hi
	v_and_b32_e32 v1, 8, v48
.LBB12_1090:                            ;   in Loop: Header=BB12_107 Depth=1
	s_or_b32 exec_lo, exec_lo, s16
	s_delay_alu instid0(VALU_DEP_1)
	v_cmp_eq_u32_e32 vcc_lo, 0, v1
	;;#ASMSTART
	s_wakeup
	;;#ASMEND
	s_or_not1_b32 s16, vcc_lo, exec_lo
.LBB12_1091:                            ;   in Loop: Header=BB12_107 Depth=1
	s_or_b32 exec_lo, exec_lo, s14
	v_sub_nc_u32_e32 v1, v39, v12
	s_xor_b32 s14, s16, -1
	s_delay_alu instid0(VALU_DEP_1)
	v_min_i32_e32 v10, v36, v1
	s_and_saveexec_b32 s16, s14
	s_cbranch_execz .LBB12_1101
; %bb.1092:                             ;   in Loop: Header=BB12_107 Depth=1
	v_and_b32_e32 v1, 0x100, v48
	s_mov_b32 s14, -1
                                        ; implicit-def: $vgpr11_vgpr12
	s_delay_alu instid0(VALU_DEP_1)
	v_cmp_ne_u32_e32 vcc_lo, 0, v1
	v_and_b32_e32 v1, 7, v8
	s_and_saveexec_b32 vcc_hi, vcc_lo
	s_cbranch_execz .LBB12_1096
; %bb.1093:                             ;   in Loop: Header=BB12_107 Depth=1
	s_delay_alu instid0(VALU_DEP_1)
	v_mad_u64_u32 v[36:37], null, v1, 24, v[6:7]
	v_ashrrev_i32_e32 v11, 31, v10
	flat_load_b32 v12, v[36:37]
	flat_store_b64 v[36:37], v[10:11] offset:8
	s_waitcnt vmcnt(0) lgkmcnt(1)
	v_cmp_ne_u32_e32 vcc_lo, 1, v12
	v_cmp_eq_u32_e64 s14, 1, v12
                                        ; implicit-def: $vgpr11_vgpr12
	s_delay_alu instid0(VALU_DEP_1)
	s_and_saveexec_b32 s30, s14
	s_cbranch_execz .LBB12_1095
; %bb.1094:                             ;   in Loop: Header=BB12_107 Depth=1
	flat_load_b32 v11, v[36:37] offset:4 glc
	s_waitcnt vmcnt(0) lgkmcnt(0)
	v_ashrrev_i32_e32 v12, 31, v11
.LBB12_1095:                            ;   in Loop: Header=BB12_107 Depth=1
	s_or_b32 exec_lo, exec_lo, s30
	s_delay_alu instid0(SALU_CYCLE_1)
	s_or_not1_b32 s14, vcc_lo, exec_lo
.LBB12_1096:                            ;   in Loop: Header=BB12_107 Depth=1
	s_or_b32 exec_lo, exec_lo, vcc_hi
	s_and_saveexec_b32 vcc_lo, s14
; %bb.1097:                             ;   in Loop: Header=BB12_107 Depth=1
	v_mad_i64_i32 v[11:12], null, v1, v49, 0
; %bb.1098:                             ;   in Loop: Header=BB12_107 Depth=1
	s_or_b32 exec_lo, exec_lo, vcc_lo
	s_delay_alu instid0(VALU_DEP_1) | instskip(SKIP_1) | instid1(VALU_DEP_3)
	v_add_co_u32 v11, vcc_lo, v22, v11
	v_and_b32_e32 v1, 0x2000, v48
	v_add_co_ci_u32_e32 v12, vcc_lo, v23, v12, vcc_lo
	s_mov_b32 s14, exec_lo
	ds_store_b64 v0, v[11:12] offset:784
	v_cmpx_ne_u32_e32 0, v1
	s_cbranch_execz .LBB12_1100
; %bb.1099:                             ;   in Loop: Header=BB12_107 Depth=1
	ds_load_b64 v[11:12], v0 offset:584
	s_waitcnt lgkmcnt(0)
	v_add_co_u32 v11, vcc_lo, v11, 1
	v_add_co_ci_u32_e32 v12, vcc_lo, 0, v12, vcc_lo
	ds_store_b64 v0, v[11:12] offset:584
.LBB12_1100:                            ;   in Loop: Header=BB12_107 Depth=1
	s_or_b32 exec_lo, exec_lo, s14
	v_add_co_u32 v8, vcc_lo, v8, 1
	v_add_co_ci_u32_e32 v9, vcc_lo, 0, v9, vcc_lo
.LBB12_1101:                            ;   in Loop: Header=BB12_107 Depth=1
	s_or_b32 exec_lo, exec_lo, s16
	s_and_saveexec_b32 s14, s3
	s_cbranch_execz .LBB12_1123
; %bb.1102:                             ;   in Loop: Header=BB12_107 Depth=1
	s_and_saveexec_b32 s16, s4
	s_delay_alu instid0(SALU_CYCLE_1)
	s_xor_b32 s16, exec_lo, s16
	s_cbranch_execz .LBB12_1120
; %bb.1103:                             ;   in Loop: Header=BB12_107 Depth=1
	s_and_saveexec_b32 vcc_hi, s5
	s_cbranch_execz .LBB12_1119
; %bb.1104:                             ;   in Loop: Header=BB12_107 Depth=1
	s_mov_b32 s31, exec_lo
	s_mov_b32 s30, exec_lo
	v_mbcnt_lo_u32_b32 v1, s31, 0
	s_waitcnt lgkmcnt(0)
	s_waitcnt_vscnt null, 0x0
	buffer_gl1_inv
	buffer_gl0_inv
	v_cmpx_eq_u32_e32 0, v1
	s_cbranch_execz .LBB12_1106
; %bb.1105:                             ;   in Loop: Header=BB12_107 Depth=1
	s_bcnt1_i32_b32 vcc_lo, s31
	s_delay_alu instid0(SALU_CYCLE_1)
	v_mov_b32_e32 v1, vcc_lo
	ds_add_u64 v0, v[1:2]
	s_cbranch_execnz .LBB12_1334
.LBB12_1106:                            ;   in Loop: Header=BB12_107 Depth=1
	s_or_b32 exec_lo, exec_lo, s30
	s_cbranch_execnz .LBB12_1310
; %bb.1107:                             ;   in Loop: Header=BB12_107 Depth=1
	ds_load_b64 v[11:12], v0
	v_add_co_u32 v26, vcc_lo, v26, v54
	v_add_co_ci_u32_e32 v27, vcc_lo, 0, v27, vcc_lo
	s_mov_b32 s30, exec_lo
	s_waitcnt lgkmcnt(0)
	s_delay_alu instid0(VALU_DEP_1)
	v_cmpx_lt_u64_e64 v[11:12], v[26:27]
	s_cbranch_execz .LBB12_1118
; %bb.1108:                             ;   in Loop: Header=BB12_107 Depth=1
	s_mov_b32 s31, 0
	s_mov_b32 s36, 0
                                        ; implicit-def: $sgpr34
                                        ; implicit-def: $sgpr35
	s_branch .LBB12_1110
.LBB12_1109:                            ;   in Loop: Header=BB12_1110 Depth=2
	s_or_b32 exec_lo, exec_lo, s38
	s_delay_alu instid0(SALU_CYCLE_1) | instskip(NEXT) | instid1(SALU_CYCLE_1)
	s_and_b32 vcc_lo, exec_lo, vcc_lo
	s_or_b32 s31, vcc_lo, s31
	s_and_not1_b32 vcc_lo, s34, exec_lo
	s_and_b32 s34, s35, exec_lo
	s_delay_alu instid0(SALU_CYCLE_1)
	s_or_b32 s34, vcc_lo, s34
	s_and_not1_b32 exec_lo, exec_lo, s31
	s_cbranch_execz .LBB12_1116
.LBB12_1110:                            ;   Parent Loop BB12_107 Depth=1
                                        ; =>  This Inner Loop Header: Depth=2
	s_add_i32 s36, s36, 1
                                        ; implicit-def: $sgpr38
	s_delay_alu instid0(SALU_CYCLE_1) | instskip(SKIP_1) | instid1(SALU_CYCLE_1)
	s_cmpk_lg_i32 s36, 0x2710
	s_cselect_b32 s37, -1, 0
	s_and_b32 vcc_lo, exec_lo, s37
	s_cbranch_vccz .LBB12_1114
.LBB12_1111:                            ;   in Loop: Header=BB12_1110 Depth=2
	s_and_not1_b32 s35, s35, exec_lo
	s_and_b32 s38, s38, exec_lo
	s_mov_b32 vcc_lo, -1
	s_or_b32 s35, s35, s38
	s_and_saveexec_b32 s38, s37
	s_cbranch_execz .LBB12_1109
; %bb.1112:                             ;   in Loop: Header=BB12_1110 Depth=2
	s_sleep 1
	s_cbranch_execnz .LBB12_1398
; %bb.1113:                             ;   in Loop: Header=BB12_1110 Depth=2
	ds_load_b64 v[11:12], v0
	s_and_not1_b32 s35, s35, exec_lo
	s_waitcnt lgkmcnt(0)
	v_cmp_ge_u64_e32 vcc_lo, v[11:12], v[26:27]
	s_or_not1_b32 vcc_lo, vcc_lo, exec_lo
	s_branch .LBB12_1109
.LBB12_1114:                            ;   in Loop: Header=BB12_1110 Depth=2
	s_cbranch_execnz .LBB12_1424
; %bb.1115:                             ;   in Loop: Header=BB12_1110 Depth=2
	ds_load_b64 v[11:12], v0
	s_and_not1_b32 s37, s37, exec_lo
	s_mov_b32 s36, 0
	s_mov_b32 s38, -1
	s_waitcnt lgkmcnt(0)
	flat_load_b32 v1, v[11:12] glc
	s_waitcnt vmcnt(0) lgkmcnt(0)
	buffer_gl1_inv
	buffer_gl0_inv
	v_cmp_eq_u32_e32 vcc_lo, 0, v1
	s_and_b32 vcc_lo, vcc_lo, exec_lo
	s_delay_alu instid0(SALU_CYCLE_1)
	s_or_b32 s37, s37, vcc_lo
	s_branch .LBB12_1111
.LBB12_1116:                            ;   in Loop: Header=BB12_107 Depth=1
	s_or_b32 exec_lo, exec_lo, s31
	s_and_saveexec_b32 vcc_lo, s34
	s_delay_alu instid0(SALU_CYCLE_1)
	s_xor_b32 vcc_lo, exec_lo, vcc_lo
	s_cbranch_execz .LBB12_1118
; %bb.1117:                             ;   in Loop: Header=BB12_107 Depth=1
	ds_store_b32 v0, v99
	s_cbranch_execnz .LBB12_1557
.LBB12_1118:                            ;   in Loop: Header=BB12_107 Depth=1
	s_or_b32 exec_lo, exec_lo, s30
	;;#ASMSTART
	s_wakeup
	;;#ASMEND
.LBB12_1119:                            ;   in Loop: Header=BB12_107 Depth=1
	s_or_b32 exec_lo, exec_lo, vcc_hi
.LBB12_1120:                            ;   in Loop: Header=BB12_107 Depth=1
	s_and_not1_saveexec_b32 s16, s16
	s_cbranch_execz .LBB12_1122
; %bb.1121:                             ;   in Loop: Header=BB12_107 Depth=1
	s_waitcnt lgkmcnt(0)
	s_waitcnt_vscnt null, 0x0
	buffer_gl1_inv
	buffer_gl0_inv
	s_barrier
.LBB12_1122:                            ;   in Loop: Header=BB12_107 Depth=1
	s_or_b32 exec_lo, exec_lo, s16
.LBB12_1123:                            ;   in Loop: Header=BB12_107 Depth=1
	s_delay_alu instid0(SALU_CYCLE_1) | instskip(SKIP_1) | instid1(SALU_CYCLE_1)
	s_or_b32 exec_lo, exec_lo, s14
                                        ; implicit-def: $vgpr1
	s_and_saveexec_b32 s14, s25
	s_xor_b32 s14, exec_lo, s14
	s_cbranch_execz .LBB12_1145
; %bb.1124:                             ;   in Loop: Header=BB12_107 Depth=1
	s_and_saveexec_b32 s16, s4
	s_delay_alu instid0(SALU_CYCLE_1)
	s_xor_b32 s16, exec_lo, s16
	s_cbranch_execz .LBB12_1142
; %bb.1125:                             ;   in Loop: Header=BB12_107 Depth=1
	s_and_saveexec_b32 vcc_hi, s5
	s_cbranch_execz .LBB12_1141
; %bb.1126:                             ;   in Loop: Header=BB12_107 Depth=1
	s_mov_b32 s31, exec_lo
	s_mov_b32 s30, exec_lo
	v_mbcnt_lo_u32_b32 v1, s31, 0
	;;#ASMSTART
	s_waitcnt lgkmcnt(0) vmcnt(0)
	;;#ASMEND
	s_delay_alu instid0(VALU_DEP_1)
	v_cmpx_eq_u32_e32 0, v1
	s_cbranch_execz .LBB12_1128
; %bb.1127:                             ;   in Loop: Header=BB12_107 Depth=1
	s_bcnt1_i32_b32 vcc_lo, s31
	s_delay_alu instid0(SALU_CYCLE_1)
	v_mov_b32_e32 v1, vcc_lo
	ds_add_u64 v0, v[1:2]
	s_cbranch_execnz .LBB12_1344
.LBB12_1128:                            ;   in Loop: Header=BB12_107 Depth=1
	s_or_b32 exec_lo, exec_lo, s30
	s_cbranch_execnz .LBB12_1324
; %bb.1129:                             ;   in Loop: Header=BB12_107 Depth=1
	ds_load_b64 v[10:11], v0
	v_add_co_u32 v26, vcc_lo, v26, v54
	v_add_co_ci_u32_e32 v27, vcc_lo, 0, v27, vcc_lo
	s_mov_b32 s30, exec_lo
	s_waitcnt lgkmcnt(0)
	s_delay_alu instid0(VALU_DEP_1)
	v_cmpx_lt_u64_e64 v[10:11], v[26:27]
	s_cbranch_execz .LBB12_1140
; %bb.1130:                             ;   in Loop: Header=BB12_107 Depth=1
	s_mov_b32 s31, 0
	s_mov_b32 s36, 0
                                        ; implicit-def: $sgpr34
                                        ; implicit-def: $sgpr35
	s_branch .LBB12_1132
.LBB12_1131:                            ;   in Loop: Header=BB12_1132 Depth=2
	s_or_b32 exec_lo, exec_lo, s38
	s_delay_alu instid0(SALU_CYCLE_1) | instskip(NEXT) | instid1(SALU_CYCLE_1)
	s_and_b32 vcc_lo, exec_lo, vcc_lo
	s_or_b32 s31, vcc_lo, s31
	s_and_not1_b32 vcc_lo, s34, exec_lo
	s_and_b32 s34, s35, exec_lo
	s_delay_alu instid0(SALU_CYCLE_1)
	s_or_b32 s34, vcc_lo, s34
	s_and_not1_b32 exec_lo, exec_lo, s31
	s_cbranch_execz .LBB12_1138
.LBB12_1132:                            ;   Parent Loop BB12_107 Depth=1
                                        ; =>  This Inner Loop Header: Depth=2
	s_add_i32 s36, s36, 1
                                        ; implicit-def: $sgpr38
	s_delay_alu instid0(SALU_CYCLE_1) | instskip(SKIP_1) | instid1(SALU_CYCLE_1)
	s_cmpk_lg_i32 s36, 0x2710
	s_cselect_b32 s37, -1, 0
	s_and_b32 vcc_lo, exec_lo, s37
	s_cbranch_vccz .LBB12_1136
.LBB12_1133:                            ;   in Loop: Header=BB12_1132 Depth=2
	s_and_not1_b32 s35, s35, exec_lo
	s_and_b32 s38, s38, exec_lo
	s_mov_b32 vcc_lo, -1
	s_or_b32 s35, s35, s38
	s_and_saveexec_b32 s38, s37
	s_cbranch_execz .LBB12_1131
; %bb.1134:                             ;   in Loop: Header=BB12_1132 Depth=2
	s_sleep 1
	s_cbranch_execnz .LBB12_1412
; %bb.1135:                             ;   in Loop: Header=BB12_1132 Depth=2
	ds_load_b64 v[10:11], v0
	s_and_not1_b32 s35, s35, exec_lo
	s_waitcnt lgkmcnt(0)
	v_cmp_ge_u64_e32 vcc_lo, v[10:11], v[26:27]
	s_or_not1_b32 vcc_lo, vcc_lo, exec_lo
	s_branch .LBB12_1131
.LBB12_1136:                            ;   in Loop: Header=BB12_1132 Depth=2
	s_cbranch_execnz .LBB12_1445
; %bb.1137:                             ;   in Loop: Header=BB12_1132 Depth=2
	ds_load_b64 v[10:11], v0
	s_and_not1_b32 s37, s37, exec_lo
	s_mov_b32 s36, 0
	s_mov_b32 s38, -1
	s_waitcnt lgkmcnt(0)
	s_waitcnt_vscnt null, 0x0
	flat_load_b32 v1, v[10:11] glc
	s_waitcnt vmcnt(0) lgkmcnt(0)
	buffer_gl1_inv
	buffer_gl0_inv
	v_cmp_eq_u32_e32 vcc_lo, 0, v1
	s_and_b32 vcc_lo, vcc_lo, exec_lo
	s_delay_alu instid0(SALU_CYCLE_1)
	s_or_b32 s37, s37, vcc_lo
	s_branch .LBB12_1133
.LBB12_1138:                            ;   in Loop: Header=BB12_107 Depth=1
	s_or_b32 exec_lo, exec_lo, s31
	s_and_saveexec_b32 vcc_lo, s34
	s_delay_alu instid0(SALU_CYCLE_1)
	s_xor_b32 vcc_lo, exec_lo, vcc_lo
	s_cbranch_execz .LBB12_1140
; %bb.1139:                             ;   in Loop: Header=BB12_107 Depth=1
	ds_store_b32 v0, v99
	s_cbranch_execnz .LBB12_1565
.LBB12_1140:                            ;   in Loop: Header=BB12_107 Depth=1
	s_or_b32 exec_lo, exec_lo, s30
	;;#ASMSTART
	s_wakeup
	;;#ASMEND
.LBB12_1141:                            ;   in Loop: Header=BB12_107 Depth=1
	s_or_b32 exec_lo, exec_lo, vcc_hi
.LBB12_1142:                            ;   in Loop: Header=BB12_107 Depth=1
	s_and_not1_saveexec_b32 s16, s16
	s_cbranch_execz .LBB12_1144
; %bb.1143:                             ;   in Loop: Header=BB12_107 Depth=1
	;;#ASMSTART
	s_waitcnt lgkmcnt(0) vmcnt(0)
	;;#ASMEND
	s_waitcnt lgkmcnt(0)
	s_waitcnt_vscnt null, 0x0
	s_barrier
.LBB12_1144:                            ;   in Loop: Header=BB12_107 Depth=1
	s_or_b32 exec_lo, exec_lo, s16
	v_and_b32_e32 v1, 16, v48
                                        ; implicit-def: $vgpr10
.LBB12_1145:                            ;   in Loop: Header=BB12_107 Depth=1
	s_and_not1_saveexec_b32 s16, s14
	s_cbranch_execz .LBB12_1150
; %bb.1146:                             ;   in Loop: Header=BB12_107 Depth=1
	s_cbranch_execnz .LBB12_1264
; %bb.1147:                             ;   in Loop: Header=BB12_107 Depth=1
	ds_load_b32 v1, v0
	v_cmp_lt_i32_e32 vcc_lo, 0, v10
	s_waitcnt lgkmcnt(0)
	v_readfirstlane_b32 s14, v1
	v_and_b32_e32 v1, 16, v48
	s_delay_alu instid0(VALU_DEP_2) | instskip(NEXT) | instid1(VALU_DEP_1)
	s_cmp_eq_u32 s14, 0
	v_cmp_ne_u32_e64 s14, 0, v1
	s_cselect_b32 vcc_hi, -1, 0
	v_and_b32_e32 v1, 16, v48
	s_and_b32 vcc_lo, vcc_lo, vcc_hi
	s_delay_alu instid0(VALU_DEP_2) | instid1(SALU_CYCLE_1)
	s_and_b32 vcc_lo, s14, vcc_lo
	s_delay_alu instid0(SALU_CYCLE_1)
	s_and_saveexec_b32 s14, vcc_lo
	s_cbranch_execz .LBB12_1149
; %bb.1148:                             ;   in Loop: Header=BB12_107 Depth=1
	v_mov_b32_e32 v1, 1
	s_waitcnt_vscnt null, 0x0
	buffer_gl1_inv
	buffer_gl0_inv
.LBB12_1149:                            ;   in Loop: Header=BB12_107 Depth=1
	s_or_b32 exec_lo, exec_lo, s14
.LBB12_1150:                            ;   in Loop: Header=BB12_107 Depth=1
	s_delay_alu instid0(SALU_CYCLE_1)
	s_or_b32 exec_lo, exec_lo, s16
	s_mov_b32 s14, s18
	s_mov_b32 s16, s17
	s_mov_b32 vcc_hi, exec_lo
	v_cmpx_ne_u32_e32 0, v1
; %bb.1151:                             ;   in Loop: Header=BB12_107 Depth=1
	s_and_not1_b32 s14, s17, exec_lo
	s_and_b32 s16, s12, exec_lo
	s_and_not1_b32 vcc_lo, s18, exec_lo
	s_and_b32 s30, s13, exec_lo
	s_or_b32 s16, s14, s16
	s_or_b32 s14, vcc_lo, s30
; %bb.1152:                             ;   in Loop: Header=BB12_107 Depth=1
	s_or_b32 exec_lo, exec_lo, vcc_hi
	s_delay_alu instid0(SALU_CYCLE_1)
	s_and_not1_b32 vcc_lo, s17, exec_lo
	s_and_b32 s16, s16, exec_lo
	s_and_not1_b32 vcc_hi, s18, exec_lo
	s_and_b32 s14, s14, exec_lo
	s_or_b32 vcc_lo, vcc_lo, s16
	s_or_b32 s16, vcc_hi, s14
.LBB12_1153:                            ;   in Loop: Header=BB12_107 Depth=1
	s_or_b32 exec_lo, exec_lo, s15
	s_delay_alu instid0(SALU_CYCLE_1)
	s_and_not1_b32 s14, s17, exec_lo
	s_and_b32 s15, vcc_lo, exec_lo
	s_and_not1_b32 s18, s18, exec_lo
	s_and_b32 s16, s16, exec_lo
	s_or_b32 s17, s14, s15
	s_or_b32 s18, s18, s16
.LBB12_1154:                            ;   in Loop: Header=BB12_107 Depth=1
	s_or_b32 exec_lo, exec_lo, s19
	s_and_saveexec_b32 s14, s18
	s_cbranch_execz .LBB12_1156
; %bb.1155:                             ;   in Loop: Header=BB12_107 Depth=1
	s_or_b32 s17, s17, exec_lo
	s_waitcnt lgkmcnt(0)
	s_waitcnt_vscnt null, 0x0
	flat_store_b32 v[24:25], v99
.LBB12_1156:                            ;   in Loop: Header=BB12_107 Depth=1
	s_or_b32 exec_lo, exec_lo, s14
	s_delay_alu instid0(SALU_CYCLE_1) | instskip(SKIP_1) | instid1(SALU_CYCLE_1)
	s_and_not1_b32 s14, s28, exec_lo
	s_and_b32 s15, s17, exec_lo
	s_or_b32 s28, s14, s15
.LBB12_1157:                            ;   in Loop: Header=BB12_107 Depth=1
	s_or_b32 exec_lo, exec_lo, s29
	s_and_saveexec_b32 s14, s28
	s_cbranch_execz .LBB12_106
; %bb.1158:                             ;   in Loop: Header=BB12_107 Depth=1
	v_add_co_u32 v8, vcc_lo, v8, 1
	v_add_co_ci_u32_e32 v9, vcc_lo, 0, v9, vcc_lo
	s_waitcnt lgkmcnt(0)
	s_waitcnt_vscnt null, 0x0
	flat_store_b64 v[20:21], v[8:9]
	s_branch .LBB12_106
.LBB12_1159:
	s_trap 2
	s_sendmsg_rtn_b32 s0, sendmsg(MSG_RTN_GET_DOORBELL)
	s_mov_b32 ttmp2, m0
	s_waitcnt lgkmcnt(0)
	s_and_b32 s0, s0, 0x3ff
	s_delay_alu instid0(SALU_CYCLE_1) | instskip(NEXT) | instid1(SALU_CYCLE_1)
	s_bitset1_b32 s0, 10
	s_mov_b32 m0, s0
	s_sendmsg sendmsg(MSG_INTERRUPT)
	s_mov_b32 m0, ttmp2
.LBB12_1160:                            ; =>This Inner Loop Header: Depth=1
	s_sethalt 5
	s_branch .LBB12_1160
.LBB12_1161:
	s_trap 2
	s_sendmsg_rtn_b32 s0, sendmsg(MSG_RTN_GET_DOORBELL)
	s_mov_b32 ttmp2, m0
	s_waitcnt lgkmcnt(0)
	s_and_b32 s0, s0, 0x3ff
	s_delay_alu instid0(SALU_CYCLE_1) | instskip(NEXT) | instid1(SALU_CYCLE_1)
	s_bitset1_b32 s0, 10
	s_mov_b32 m0, s0
	s_sendmsg sendmsg(MSG_INTERRUPT)
	s_mov_b32 m0, ttmp2
.LBB12_1162:                            ; =>This Inner Loop Header: Depth=1
	s_sethalt 5
	s_branch .LBB12_1162
.LBB12_1163:
	s_trap 2
	s_sendmsg_rtn_b32 s0, sendmsg(MSG_RTN_GET_DOORBELL)
	s_mov_b32 ttmp2, m0
	s_waitcnt lgkmcnt(0)
	s_and_b32 s0, s0, 0x3ff
	s_delay_alu instid0(SALU_CYCLE_1) | instskip(NEXT) | instid1(SALU_CYCLE_1)
	s_bitset1_b32 s0, 10
	s_mov_b32 m0, s0
	s_sendmsg sendmsg(MSG_INTERRUPT)
	s_mov_b32 m0, ttmp2
.LBB12_1164:                            ; =>This Inner Loop Header: Depth=1
	s_sethalt 5
	s_branch .LBB12_1164
.LBB12_1165:
	s_trap 2
	s_sendmsg_rtn_b32 s0, sendmsg(MSG_RTN_GET_DOORBELL)
	s_mov_b32 ttmp2, m0
	s_waitcnt lgkmcnt(0)
	s_and_b32 s0, s0, 0x3ff
	s_delay_alu instid0(SALU_CYCLE_1) | instskip(NEXT) | instid1(SALU_CYCLE_1)
	s_bitset1_b32 s0, 10
	s_mov_b32 m0, s0
	s_sendmsg sendmsg(MSG_INTERRUPT)
	s_mov_b32 m0, ttmp2
.LBB12_1166:                            ; =>This Inner Loop Header: Depth=1
	s_sethalt 5
	s_branch .LBB12_1166
.LBB12_1167:
	s_trap 2
	s_sendmsg_rtn_b32 s0, sendmsg(MSG_RTN_GET_DOORBELL)
	s_mov_b32 ttmp2, m0
	s_waitcnt lgkmcnt(0)
	s_and_b32 s0, s0, 0x3ff
	s_delay_alu instid0(SALU_CYCLE_1) | instskip(NEXT) | instid1(SALU_CYCLE_1)
	s_bitset1_b32 s0, 10
	s_mov_b32 m0, s0
	s_sendmsg sendmsg(MSG_INTERRUPT)
	s_mov_b32 m0, ttmp2
.LBB12_1168:                            ; =>This Inner Loop Header: Depth=1
	s_sethalt 5
	s_branch .LBB12_1168
.LBB12_1169:
	s_trap 2
	s_sendmsg_rtn_b32 s0, sendmsg(MSG_RTN_GET_DOORBELL)
	s_mov_b32 ttmp2, m0
	s_waitcnt lgkmcnt(0)
	s_and_b32 s0, s0, 0x3ff
	s_delay_alu instid0(SALU_CYCLE_1) | instskip(NEXT) | instid1(SALU_CYCLE_1)
	s_bitset1_b32 s0, 10
	s_mov_b32 m0, s0
	s_sendmsg sendmsg(MSG_INTERRUPT)
	s_mov_b32 m0, ttmp2
.LBB12_1170:                            ; =>This Inner Loop Header: Depth=1
	s_sethalt 5
	s_branch .LBB12_1170
.LBB12_1171:
	s_trap 2
	s_sendmsg_rtn_b32 s0, sendmsg(MSG_RTN_GET_DOORBELL)
	s_mov_b32 ttmp2, m0
	s_waitcnt lgkmcnt(0)
	s_and_b32 s0, s0, 0x3ff
	s_delay_alu instid0(SALU_CYCLE_1) | instskip(NEXT) | instid1(SALU_CYCLE_1)
	s_bitset1_b32 s0, 10
	s_mov_b32 m0, s0
	s_sendmsg sendmsg(MSG_INTERRUPT)
	s_mov_b32 m0, ttmp2
.LBB12_1172:                            ; =>This Inner Loop Header: Depth=1
	s_sethalt 5
	s_branch .LBB12_1172
.LBB12_1173:
	s_trap 2
	s_sendmsg_rtn_b32 s0, sendmsg(MSG_RTN_GET_DOORBELL)
	s_mov_b32 ttmp2, m0
	s_waitcnt lgkmcnt(0)
	s_and_b32 s0, s0, 0x3ff
	s_delay_alu instid0(SALU_CYCLE_1) | instskip(NEXT) | instid1(SALU_CYCLE_1)
	s_bitset1_b32 s0, 10
	s_mov_b32 m0, s0
	s_sendmsg sendmsg(MSG_INTERRUPT)
	s_mov_b32 m0, ttmp2
.LBB12_1174:                            ; =>This Inner Loop Header: Depth=1
	s_sethalt 5
	s_branch .LBB12_1174
.LBB12_1175:
	s_trap 2
	s_sendmsg_rtn_b32 s0, sendmsg(MSG_RTN_GET_DOORBELL)
	s_mov_b32 ttmp2, m0
	s_waitcnt lgkmcnt(0)
	s_and_b32 s0, s0, 0x3ff
	s_delay_alu instid0(SALU_CYCLE_1) | instskip(NEXT) | instid1(SALU_CYCLE_1)
	s_bitset1_b32 s0, 10
	s_mov_b32 m0, s0
	s_sendmsg sendmsg(MSG_INTERRUPT)
	s_mov_b32 m0, ttmp2
.LBB12_1176:                            ; =>This Inner Loop Header: Depth=1
	s_sethalt 5
	s_branch .LBB12_1176
.LBB12_1177:
	s_trap 2
	s_sendmsg_rtn_b32 s0, sendmsg(MSG_RTN_GET_DOORBELL)
	s_mov_b32 ttmp2, m0
	s_waitcnt lgkmcnt(0)
	s_and_b32 s0, s0, 0x3ff
	s_delay_alu instid0(SALU_CYCLE_1) | instskip(NEXT) | instid1(SALU_CYCLE_1)
	s_bitset1_b32 s0, 10
	s_mov_b32 m0, s0
	s_sendmsg sendmsg(MSG_INTERRUPT)
	s_mov_b32 m0, ttmp2
.LBB12_1178:                            ; =>This Inner Loop Header: Depth=1
	s_sethalt 5
	s_branch .LBB12_1178
.LBB12_1179:
	s_trap 2
	s_sendmsg_rtn_b32 s0, sendmsg(MSG_RTN_GET_DOORBELL)
	s_mov_b32 ttmp2, m0
	s_waitcnt lgkmcnt(0)
	s_and_b32 s0, s0, 0x3ff
	s_delay_alu instid0(SALU_CYCLE_1) | instskip(NEXT) | instid1(SALU_CYCLE_1)
	s_bitset1_b32 s0, 10
	s_mov_b32 m0, s0
	s_sendmsg sendmsg(MSG_INTERRUPT)
	s_mov_b32 m0, ttmp2
.LBB12_1180:                            ; =>This Inner Loop Header: Depth=1
	s_sethalt 5
	s_branch .LBB12_1180
.LBB12_1181:
	s_or_b32 exec_lo, exec_lo, s23
.LBB12_1182:
	s_delay_alu instid0(SALU_CYCLE_1)
	s_or_b32 exec_lo, exec_lo, s22
; %bb.1183:
	v_and_b32_e32 v0, 0x800, v48
	s_mov_b32 s0, exec_lo
	s_delay_alu instid0(VALU_DEP_1)
	v_cmpx_eq_u32_e32 0, v0
	s_cbranch_execz .LBB12_1432
; %bb.1184:
	v_and_b32_e32 v0, 48, v48
	s_mov_b32 s1, exec_lo
	s_delay_alu instid0(VALU_DEP_1)
	v_cmpx_ne_u32_e32 0, v0
	s_cbranch_execz .LBB12_1186
; %bb.1185:
	s_waitcnt lgkmcnt(0)
	flat_store_b64 v[18:19], v[8:9] offset:104
.LBB12_1186:
	s_or_b32 exec_lo, exec_lo, s1
	v_and_b32_e32 v0, 0x88, v48
	s_mov_b32 s1, exec_lo
	s_delay_alu instid0(VALU_DEP_1)
	v_cmpx_eq_u32_e32 0x88, v0
	s_cbranch_execz .LBB12_1202
; %bb.1187:
	s_waitcnt lgkmcnt(0)
	v_add_nc_u32_e32 v0, -1, v8
	s_mov_b32 s2, 0
                                        ; implicit-def: $sgpr3
	s_delay_alu instid0(VALU_DEP_1) | instskip(NEXT) | instid1(VALU_DEP_1)
	v_and_b32_e32 v2, 7, v0
	v_mad_u64_u32 v[0:1], null, v2, 24, v[6:7]
	v_mov_b32_e32 v2, 0
	s_delay_alu instid0(VALU_DEP_2) | instskip(NEXT) | instid1(VALU_DEP_3)
	v_add_co_u32 v0, vcc_lo, v0, 8
	v_add_co_ci_u32_e32 v1, vcc_lo, 0, v1, vcc_lo
	s_branch .LBB12_1192
.LBB12_1188:                            ;   in Loop: Header=BB12_1192 Depth=1
	s_or_b32 exec_lo, exec_lo, s10
	v_mov_b32_e32 v3, 0
	s_or_not1_b32 s7, s7, exec_lo
.LBB12_1189:                            ;   in Loop: Header=BB12_1192 Depth=1
	s_or_b32 exec_lo, exec_lo, s6
	s_delay_alu instid0(VALU_DEP_1)
	v_mov_b32_e32 v2, v3
	s_and_b32 s6, s7, exec_lo
.LBB12_1190:                            ;   in Loop: Header=BB12_1192 Depth=1
	s_or_b32 exec_lo, exec_lo, s5
	s_xor_b32 s5, s6, -1
	s_and_not1_b32 s3, s3, exec_lo
	s_and_b32 s5, s5, exec_lo
	s_delay_alu instid0(SALU_CYCLE_1)
	s_or_b32 s3, s3, s5
.LBB12_1191:                            ;   in Loop: Header=BB12_1192 Depth=1
	s_or_b32 exec_lo, exec_lo, s4
	s_delay_alu instid0(SALU_CYCLE_1) | instskip(NEXT) | instid1(SALU_CYCLE_1)
	s_and_b32 s4, exec_lo, s3
	s_or_b32 s2, s4, s2
	s_delay_alu instid0(SALU_CYCLE_1)
	s_and_not1_b32 exec_lo, exec_lo, s2
	s_cbranch_execz .LBB12_1201
.LBB12_1192:                            ; =>This Inner Loop Header: Depth=1
	flat_load_b64 v[3:4], v[0:1] glc dlc
	s_waitcnt vmcnt(0)
	s_or_b32 s3, s3, exec_lo
	s_mov_b32 s4, exec_lo
	s_waitcnt lgkmcnt(0)
	v_cmpx_ne_u64_e32 -1, v[3:4]
	s_cbranch_execz .LBB12_1191
; %bb.1193:                             ;   in Loop: Header=BB12_1192 Depth=1
	v_and_b32_e32 v3, 64, v48
	s_mov_b32 s6, 0
	s_mov_b32 s5, exec_lo
	s_delay_alu instid0(VALU_DEP_1)
	v_cmpx_eq_u32_e32 0, v3
	s_cbranch_execz .LBB12_1190
; %bb.1194:                             ;   in Loop: Header=BB12_1192 Depth=1
	v_add_nc_u32_e32 v3, 1, v2
	s_mov_b32 s7, -1
	s_mov_b32 s6, exec_lo
	v_cmpx_lt_i32_e32 0x270e, v2
	s_cbranch_execz .LBB12_1189
; %bb.1195:                             ;   in Loop: Header=BB12_1192 Depth=1
	s_cbranch_execnz .LBB12_1199
; %bb.1196:                             ;   in Loop: Header=BB12_1192 Depth=1
	ds_load_b64 v[2:3], v0
	s_mov_b32 s10, exec_lo
	s_waitcnt lgkmcnt(0)
	s_waitcnt_vscnt null, 0x0
	flat_load_b32 v2, v[2:3] glc
	s_waitcnt vmcnt(0) lgkmcnt(0)
	buffer_gl1_inv
	buffer_gl0_inv
	v_cmpx_ne_u32_e32 0, v2
	s_cbranch_execz .LBB12_1188
; %bb.1197:                             ;   in Loop: Header=BB12_1192 Depth=1
	ds_store_b32 v0, v2
	s_cbranch_execnz .LBB12_1215
; %bb.1198:                             ;   in Loop: Header=BB12_1192 Depth=1
	v_or_b32_e32 v48, 64, v48
	s_xor_b32 s7, exec_lo, -1
	s_branch .LBB12_1188
.LBB12_1199:
	s_trap 2
	s_sendmsg_rtn_b32 s0, sendmsg(MSG_RTN_GET_DOORBELL)
	s_mov_b32 ttmp2, m0
	s_waitcnt lgkmcnt(0)
	s_and_b32 s0, s0, 0x3ff
	s_delay_alu instid0(SALU_CYCLE_1) | instskip(NEXT) | instid1(SALU_CYCLE_1)
	s_bitset1_b32 s0, 10
	s_mov_b32 m0, s0
	s_sendmsg sendmsg(MSG_INTERRUPT)
	s_mov_b32 m0, ttmp2
.LBB12_1200:                            ; =>This Inner Loop Header: Depth=1
	s_sethalt 5
	s_branch .LBB12_1200
.LBB12_1201:
	s_or_b32 exec_lo, exec_lo, s2
.LBB12_1202:
	s_delay_alu instid0(SALU_CYCLE_1) | instskip(SKIP_2) | instid1(VALU_DEP_1)
	s_or_b32 exec_lo, exec_lo, s1
	v_and_b32_e32 v0, 0x2000, v48
	s_mov_b32 s1, exec_lo
	v_cmpx_ne_u32_e32 0, v0
	s_cbranch_execz .LBB12_1205
; %bb.1203:
	s_cbranch_execnz .LBB12_1213
; %bb.1204:
	ds_load_b64 v[0:1], v0
	s_waitcnt lgkmcnt(0)
	flat_store_b64 v[16:17], v[0:1] offset:16
.LBB12_1205:
	s_or_b32 exec_lo, exec_lo, s1
	v_cmp_ne_u32_e32 vcc_lo, 32, v30
	s_and_b32 exec_lo, exec_lo, vcc_lo
	s_cbranch_execz .LBB12_1432
; %bb.1206:
	s_mov_b32 s1, exec_lo
	v_cmpx_ne_u32_e64 v30, v50
	s_xor_b32 s1, exec_lo, s1
	s_cbranch_execz .LBB12_1430
; %bb.1207:
	v_and_b32_e32 v0, 31, v31
	s_mov_b32 s2, exec_lo
	s_delay_alu instid0(VALU_DEP_1)
	v_cmpx_eq_u32_e32 0, v0
	s_cbranch_execz .LBB12_1429
; %bb.1208:
	s_mov_b32 s4, exec_lo
	s_mov_b32 s3, exec_lo
	v_mbcnt_lo_u32_b32 v0, s4, 0
	s_waitcnt lgkmcnt(0)
	s_waitcnt_vscnt null, 0x0
	buffer_gl1_inv
	buffer_gl0_inv
	v_cmpx_eq_u32_e32 0, v0
	s_cbranch_execz .LBB12_1210
; %bb.1209:
	s_bcnt1_i32_b32 s4, s4
	s_delay_alu instid0(SALU_CYCLE_1)
	v_dual_mov_b32 v1, 0 :: v_dual_mov_b32 v0, s4
	ds_add_u64 v0, v[0:1]
	s_cbranch_execnz .LBB12_1260
.LBB12_1210:
	s_or_b32 exec_lo, exec_lo, s3
	s_cbranch_execnz .LBB12_1235
; %bb.1211:
	v_ashrrev_i32_e32 v0, 31, v30
	s_mov_b32 s3, exec_lo
	s_delay_alu instid0(VALU_DEP_1) | instskip(NEXT) | instid1(VALU_DEP_1)
	v_lshrrev_b32_e32 v0, 27, v0
	v_add_nc_u32_e32 v0, v30, v0
	ds_load_b64 v[2:3], v0
	v_ashrrev_i32_e32 v0, 5, v0
	s_delay_alu instid0(VALU_DEP_1) | instskip(SKIP_1) | instid1(VALU_DEP_2)
	v_ashrrev_i32_e32 v1, 31, v0
	v_add_co_u32 v0, vcc_lo, v26, v0
	v_add_co_ci_u32_e32 v1, vcc_lo, v27, v1, vcc_lo
	s_waitcnt lgkmcnt(0)
	s_delay_alu instid0(VALU_DEP_1)
	v_cmpx_lt_u64_e64 v[2:3], v[0:1]
	s_cbranch_execz .LBB12_1428
; %bb.1212:
	s_mov_b32 s4, 0
	s_mov_b32 s7, 0
                                        ; implicit-def: $sgpr5
                                        ; implicit-def: $sgpr6
	s_branch .LBB12_1244
.LBB12_1213:
	s_trap 2
	s_sendmsg_rtn_b32 s0, sendmsg(MSG_RTN_GET_DOORBELL)
	s_mov_b32 ttmp2, m0
	s_waitcnt lgkmcnt(0)
	s_and_b32 s0, s0, 0x3ff
	s_delay_alu instid0(SALU_CYCLE_1) | instskip(NEXT) | instid1(SALU_CYCLE_1)
	s_bitset1_b32 s0, 10
	s_mov_b32 m0, s0
	s_sendmsg sendmsg(MSG_INTERRUPT)
	s_mov_b32 m0, ttmp2
.LBB12_1214:                            ; =>This Inner Loop Header: Depth=1
	s_sethalt 5
	s_branch .LBB12_1214
.LBB12_1215:
	s_trap 2
	s_sendmsg_rtn_b32 s0, sendmsg(MSG_RTN_GET_DOORBELL)
	s_mov_b32 ttmp2, m0
	s_waitcnt lgkmcnt(0)
	s_and_b32 s0, s0, 0x3ff
	s_delay_alu instid0(SALU_CYCLE_1) | instskip(NEXT) | instid1(SALU_CYCLE_1)
	s_bitset1_b32 s0, 10
	s_mov_b32 m0, s0
	s_sendmsg sendmsg(MSG_INTERRUPT)
	s_mov_b32 m0, ttmp2
.LBB12_1216:                            ; =>This Inner Loop Header: Depth=1
	s_sethalt 5
	s_branch .LBB12_1216
.LBB12_1217:
	s_trap 2
	s_sendmsg_rtn_b32 s0, sendmsg(MSG_RTN_GET_DOORBELL)
	s_mov_b32 ttmp2, m0
	s_waitcnt lgkmcnt(0)
	s_and_b32 s0, s0, 0x3ff
	s_delay_alu instid0(SALU_CYCLE_1) | instskip(NEXT) | instid1(SALU_CYCLE_1)
	s_bitset1_b32 s0, 10
	s_mov_b32 m0, s0
	s_sendmsg sendmsg(MSG_INTERRUPT)
	s_mov_b32 m0, ttmp2
.LBB12_1218:                            ; =>This Inner Loop Header: Depth=1
	s_sethalt 5
	s_branch .LBB12_1218
.LBB12_1219:
	s_trap 2
	s_sendmsg_rtn_b32 s0, sendmsg(MSG_RTN_GET_DOORBELL)
	s_mov_b32 ttmp2, m0
	s_waitcnt lgkmcnt(0)
	s_and_b32 s0, s0, 0x3ff
	s_delay_alu instid0(SALU_CYCLE_1) | instskip(NEXT) | instid1(SALU_CYCLE_1)
	s_bitset1_b32 s0, 10
	s_mov_b32 m0, s0
	s_sendmsg sendmsg(MSG_INTERRUPT)
	s_mov_b32 m0, ttmp2
.LBB12_1220:                            ; =>This Inner Loop Header: Depth=1
	s_sethalt 5
	s_branch .LBB12_1220
.LBB12_1221:
	s_trap 2
	s_sendmsg_rtn_b32 s0, sendmsg(MSG_RTN_GET_DOORBELL)
	s_mov_b32 ttmp2, m0
	s_waitcnt lgkmcnt(0)
	s_and_b32 s0, s0, 0x3ff
	s_delay_alu instid0(SALU_CYCLE_1) | instskip(NEXT) | instid1(SALU_CYCLE_1)
	s_bitset1_b32 s0, 10
	s_mov_b32 m0, s0
	s_sendmsg sendmsg(MSG_INTERRUPT)
	s_mov_b32 m0, ttmp2
.LBB12_1222:                            ; =>This Inner Loop Header: Depth=1
	s_sethalt 5
	s_branch .LBB12_1222
.LBB12_1223:
	s_trap 2
	s_sendmsg_rtn_b32 s0, sendmsg(MSG_RTN_GET_DOORBELL)
	s_mov_b32 ttmp2, m0
	s_waitcnt lgkmcnt(0)
	s_and_b32 s0, s0, 0x3ff
	s_delay_alu instid0(SALU_CYCLE_1) | instskip(NEXT) | instid1(SALU_CYCLE_1)
	s_bitset1_b32 s0, 10
	s_mov_b32 m0, s0
	s_sendmsg sendmsg(MSG_INTERRUPT)
	s_mov_b32 m0, ttmp2
.LBB12_1224:                            ; =>This Inner Loop Header: Depth=1
	s_sethalt 5
	s_branch .LBB12_1224
.LBB12_1225:
	s_trap 2
	s_sendmsg_rtn_b32 s0, sendmsg(MSG_RTN_GET_DOORBELL)
	s_mov_b32 ttmp2, m0
	s_waitcnt lgkmcnt(0)
	s_and_b32 s0, s0, 0x3ff
	s_delay_alu instid0(SALU_CYCLE_1) | instskip(NEXT) | instid1(SALU_CYCLE_1)
	s_bitset1_b32 s0, 10
	s_mov_b32 m0, s0
	s_sendmsg sendmsg(MSG_INTERRUPT)
	s_mov_b32 m0, ttmp2
.LBB12_1226:                            ; =>This Inner Loop Header: Depth=1
	s_sethalt 5
	s_branch .LBB12_1226
.LBB12_1227:
	s_trap 2
	s_sendmsg_rtn_b32 s0, sendmsg(MSG_RTN_GET_DOORBELL)
	s_mov_b32 ttmp2, m0
	s_waitcnt lgkmcnt(0)
	s_and_b32 s0, s0, 0x3ff
	s_delay_alu instid0(SALU_CYCLE_1) | instskip(NEXT) | instid1(SALU_CYCLE_1)
	s_bitset1_b32 s0, 10
	s_mov_b32 m0, s0
	s_sendmsg sendmsg(MSG_INTERRUPT)
	s_mov_b32 m0, ttmp2
.LBB12_1228:                            ; =>This Inner Loop Header: Depth=1
	s_sethalt 5
	s_branch .LBB12_1228
.LBB12_1229:
	s_trap 2
	s_sendmsg_rtn_b32 s0, sendmsg(MSG_RTN_GET_DOORBELL)
	s_mov_b32 ttmp2, m0
	s_waitcnt lgkmcnt(0)
	s_and_b32 s0, s0, 0x3ff
	s_delay_alu instid0(SALU_CYCLE_1) | instskip(NEXT) | instid1(SALU_CYCLE_1)
	s_bitset1_b32 s0, 10
	s_mov_b32 m0, s0
	s_sendmsg sendmsg(MSG_INTERRUPT)
	s_mov_b32 m0, ttmp2
.LBB12_1230:                            ; =>This Inner Loop Header: Depth=1
	s_sethalt 5
	s_branch .LBB12_1230
.LBB12_1231:
	s_trap 2
	s_sendmsg_rtn_b32 s0, sendmsg(MSG_RTN_GET_DOORBELL)
	s_mov_b32 ttmp2, m0
	s_waitcnt lgkmcnt(0)
	s_and_b32 s0, s0, 0x3ff
	s_delay_alu instid0(SALU_CYCLE_1) | instskip(NEXT) | instid1(SALU_CYCLE_1)
	s_bitset1_b32 s0, 10
	s_mov_b32 m0, s0
	s_sendmsg sendmsg(MSG_INTERRUPT)
	s_mov_b32 m0, ttmp2
.LBB12_1232:                            ; =>This Inner Loop Header: Depth=1
	s_sethalt 5
	s_branch .LBB12_1232
.LBB12_1233:
	s_trap 2
	s_sendmsg_rtn_b32 s0, sendmsg(MSG_RTN_GET_DOORBELL)
	s_mov_b32 ttmp2, m0
	s_waitcnt lgkmcnt(0)
	s_and_b32 s0, s0, 0x3ff
	s_delay_alu instid0(SALU_CYCLE_1) | instskip(NEXT) | instid1(SALU_CYCLE_1)
	s_bitset1_b32 s0, 10
	s_mov_b32 m0, s0
	s_sendmsg sendmsg(MSG_INTERRUPT)
	s_mov_b32 m0, ttmp2
.LBB12_1234:                            ; =>This Inner Loop Header: Depth=1
	s_sethalt 5
	s_branch .LBB12_1234
.LBB12_1235:
	s_trap 2
	s_sendmsg_rtn_b32 s0, sendmsg(MSG_RTN_GET_DOORBELL)
	s_mov_b32 ttmp2, m0
	s_waitcnt lgkmcnt(0)
	s_and_b32 s0, s0, 0x3ff
	s_delay_alu instid0(SALU_CYCLE_1) | instskip(NEXT) | instid1(SALU_CYCLE_1)
	s_bitset1_b32 s0, 10
	s_mov_b32 m0, s0
	s_sendmsg sendmsg(MSG_INTERRUPT)
	s_mov_b32 m0, ttmp2
.LBB12_1236:                            ; =>This Inner Loop Header: Depth=1
	s_sethalt 5
	s_branch .LBB12_1236
.LBB12_1237:
	s_trap 2
	s_sendmsg_rtn_b32 s0, sendmsg(MSG_RTN_GET_DOORBELL)
	s_mov_b32 ttmp2, m0
	s_waitcnt lgkmcnt(0)
	s_and_b32 s0, s0, 0x3ff
	s_delay_alu instid0(SALU_CYCLE_1) | instskip(NEXT) | instid1(SALU_CYCLE_1)
	s_bitset1_b32 s0, 10
	s_mov_b32 m0, s0
	s_sendmsg sendmsg(MSG_INTERRUPT)
	s_mov_b32 m0, ttmp2
.LBB12_1238:                            ; =>This Inner Loop Header: Depth=1
	s_sethalt 5
	s_branch .LBB12_1238
.LBB12_1239:
	s_trap 2
	s_sendmsg_rtn_b32 s0, sendmsg(MSG_RTN_GET_DOORBELL)
	s_mov_b32 ttmp2, m0
	s_waitcnt lgkmcnt(0)
	s_and_b32 s0, s0, 0x3ff
	s_delay_alu instid0(SALU_CYCLE_1) | instskip(NEXT) | instid1(SALU_CYCLE_1)
	s_bitset1_b32 s0, 10
	s_mov_b32 m0, s0
	s_sendmsg sendmsg(MSG_INTERRUPT)
	s_mov_b32 m0, ttmp2
.LBB12_1240:                            ; =>This Inner Loop Header: Depth=1
	s_sethalt 5
	s_branch .LBB12_1240
.LBB12_1241:
	s_trap 2
	s_sendmsg_rtn_b32 s0, sendmsg(MSG_RTN_GET_DOORBELL)
	s_mov_b32 ttmp2, m0
	s_waitcnt lgkmcnt(0)
	s_and_b32 s0, s0, 0x3ff
	s_delay_alu instid0(SALU_CYCLE_1) | instskip(NEXT) | instid1(SALU_CYCLE_1)
	s_bitset1_b32 s0, 10
	s_mov_b32 m0, s0
	s_sendmsg sendmsg(MSG_INTERRUPT)
	s_mov_b32 m0, ttmp2
.LBB12_1242:                            ; =>This Inner Loop Header: Depth=1
	s_sethalt 5
	s_branch .LBB12_1242
.LBB12_1243:                            ;   in Loop: Header=BB12_1244 Depth=1
	s_or_b32 exec_lo, exec_lo, s12
	s_delay_alu instid0(SALU_CYCLE_1) | instskip(NEXT) | instid1(SALU_CYCLE_1)
	s_and_b32 s10, exec_lo, s11
	s_or_b32 s4, s10, s4
	s_and_not1_b32 s5, s5, exec_lo
	s_and_b32 s10, s6, exec_lo
	s_delay_alu instid0(SALU_CYCLE_1)
	s_or_b32 s5, s5, s10
	s_and_not1_b32 exec_lo, exec_lo, s4
	s_cbranch_execz .LBB12_1426
.LBB12_1244:                            ; =>This Inner Loop Header: Depth=1
	s_add_i32 s7, s7, 1
                                        ; implicit-def: $sgpr11
	s_delay_alu instid0(SALU_CYCLE_1) | instskip(SKIP_1) | instid1(SALU_CYCLE_1)
	s_cmpk_lg_i32 s7, 0x2710
	s_cselect_b32 s10, -1, 0
	s_and_b32 vcc_lo, exec_lo, s10
	s_cbranch_vccz .LBB12_1248
.LBB12_1245:                            ;   in Loop: Header=BB12_1244 Depth=1
	s_and_not1_b32 s6, s6, exec_lo
	s_and_b32 s12, s11, exec_lo
	s_mov_b32 s11, -1
	s_or_b32 s6, s6, s12
	s_and_saveexec_b32 s12, s10
	s_cbranch_execz .LBB12_1243
; %bb.1246:                             ;   in Loop: Header=BB12_1244 Depth=1
	s_sleep 1
	s_cbranch_execnz .LBB12_1270
; %bb.1247:                             ;   in Loop: Header=BB12_1244 Depth=1
	ds_load_b64 v[2:3], v0
	s_and_not1_b32 s6, s6, exec_lo
	s_waitcnt lgkmcnt(0)
	v_cmp_ge_u64_e32 vcc_lo, v[2:3], v[0:1]
	s_or_not1_b32 s11, vcc_lo, exec_lo
	s_branch .LBB12_1243
.LBB12_1248:                            ;   in Loop: Header=BB12_1244 Depth=1
	s_cbranch_execnz .LBB12_1286
; %bb.1249:                             ;   in Loop: Header=BB12_1244 Depth=1
	ds_load_b64 v[2:3], v0
	s_and_not1_b32 s10, s10, exec_lo
	s_mov_b32 s7, 0
	s_mov_b32 s11, -1
	s_waitcnt lgkmcnt(0)
	flat_load_b32 v2, v[2:3] glc
	s_waitcnt vmcnt(0) lgkmcnt(0)
	buffer_gl1_inv
	buffer_gl0_inv
	v_cmp_eq_u32_e32 vcc_lo, 0, v2
	s_and_b32 s12, vcc_lo, exec_lo
	s_delay_alu instid0(SALU_CYCLE_1)
	s_or_b32 s10, s10, s12
	s_branch .LBB12_1245
.LBB12_1250:
	s_trap 2
	s_sendmsg_rtn_b32 s0, sendmsg(MSG_RTN_GET_DOORBELL)
	s_mov_b32 ttmp2, m0
	s_waitcnt lgkmcnt(0)
	s_and_b32 s0, s0, 0x3ff
	s_delay_alu instid0(SALU_CYCLE_1) | instskip(NEXT) | instid1(SALU_CYCLE_1)
	s_bitset1_b32 s0, 10
	s_mov_b32 m0, s0
	s_sendmsg sendmsg(MSG_INTERRUPT)
	s_mov_b32 m0, ttmp2
.LBB12_1251:                            ; =>This Inner Loop Header: Depth=1
	s_sethalt 5
	s_branch .LBB12_1251
.LBB12_1252:
	s_trap 2
	s_sendmsg_rtn_b32 s0, sendmsg(MSG_RTN_GET_DOORBELL)
	s_mov_b32 ttmp2, m0
	s_waitcnt lgkmcnt(0)
	s_and_b32 s0, s0, 0x3ff
	s_delay_alu instid0(SALU_CYCLE_1) | instskip(NEXT) | instid1(SALU_CYCLE_1)
	s_bitset1_b32 s0, 10
	s_mov_b32 m0, s0
	s_sendmsg sendmsg(MSG_INTERRUPT)
	s_mov_b32 m0, ttmp2
.LBB12_1253:                            ; =>This Inner Loop Header: Depth=1
	s_sethalt 5
	s_branch .LBB12_1253
.LBB12_1254:
	s_trap 2
	s_sendmsg_rtn_b32 s0, sendmsg(MSG_RTN_GET_DOORBELL)
	s_mov_b32 ttmp2, m0
	s_waitcnt lgkmcnt(0)
	s_and_b32 s0, s0, 0x3ff
	s_delay_alu instid0(SALU_CYCLE_1) | instskip(NEXT) | instid1(SALU_CYCLE_1)
	s_bitset1_b32 s0, 10
	s_mov_b32 m0, s0
	s_sendmsg sendmsg(MSG_INTERRUPT)
	s_mov_b32 m0, ttmp2
.LBB12_1255:                            ; =>This Inner Loop Header: Depth=1
	s_sethalt 5
	s_branch .LBB12_1255
.LBB12_1256:
	s_trap 2
	s_sendmsg_rtn_b32 s0, sendmsg(MSG_RTN_GET_DOORBELL)
	s_mov_b32 ttmp2, m0
	s_waitcnt lgkmcnt(0)
	s_and_b32 s0, s0, 0x3ff
	s_delay_alu instid0(SALU_CYCLE_1) | instskip(NEXT) | instid1(SALU_CYCLE_1)
	s_bitset1_b32 s0, 10
	s_mov_b32 m0, s0
	s_sendmsg sendmsg(MSG_INTERRUPT)
	s_mov_b32 m0, ttmp2
.LBB12_1257:                            ; =>This Inner Loop Header: Depth=1
	s_sethalt 5
	s_branch .LBB12_1257
.LBB12_1258:
	s_trap 2
	s_sendmsg_rtn_b32 s0, sendmsg(MSG_RTN_GET_DOORBELL)
	s_mov_b32 ttmp2, m0
	s_waitcnt lgkmcnt(0)
	s_and_b32 s0, s0, 0x3ff
	s_delay_alu instid0(SALU_CYCLE_1) | instskip(NEXT) | instid1(SALU_CYCLE_1)
	s_bitset1_b32 s0, 10
	s_mov_b32 m0, s0
	s_sendmsg sendmsg(MSG_INTERRUPT)
	s_mov_b32 m0, ttmp2
.LBB12_1259:                            ; =>This Inner Loop Header: Depth=1
	s_sethalt 5
	s_branch .LBB12_1259
.LBB12_1260:
	s_trap 2
	s_sendmsg_rtn_b32 s0, sendmsg(MSG_RTN_GET_DOORBELL)
	s_mov_b32 ttmp2, m0
	s_waitcnt lgkmcnt(0)
	s_and_b32 s0, s0, 0x3ff
	s_delay_alu instid0(SALU_CYCLE_1) | instskip(NEXT) | instid1(SALU_CYCLE_1)
	s_bitset1_b32 s0, 10
	s_mov_b32 m0, s0
	s_sendmsg sendmsg(MSG_INTERRUPT)
	s_mov_b32 m0, ttmp2
.LBB12_1261:                            ; =>This Inner Loop Header: Depth=1
	s_sethalt 5
	s_branch .LBB12_1261
.LBB12_1262:
	s_trap 2
	s_sendmsg_rtn_b32 s0, sendmsg(MSG_RTN_GET_DOORBELL)
	s_mov_b32 ttmp2, m0
	s_waitcnt lgkmcnt(0)
	s_and_b32 s0, s0, 0x3ff
	s_delay_alu instid0(SALU_CYCLE_1) | instskip(NEXT) | instid1(SALU_CYCLE_1)
	s_bitset1_b32 s0, 10
	s_mov_b32 m0, s0
	s_sendmsg sendmsg(MSG_INTERRUPT)
	s_mov_b32 m0, ttmp2
.LBB12_1263:                            ; =>This Inner Loop Header: Depth=1
	s_sethalt 5
	s_branch .LBB12_1263
.LBB12_1264:
	s_trap 2
	s_sendmsg_rtn_b32 s0, sendmsg(MSG_RTN_GET_DOORBELL)
	s_mov_b32 ttmp2, m0
	s_waitcnt lgkmcnt(0)
	s_and_b32 s0, s0, 0x3ff
	s_delay_alu instid0(SALU_CYCLE_1) | instskip(NEXT) | instid1(SALU_CYCLE_1)
	s_bitset1_b32 s0, 10
	s_mov_b32 m0, s0
	s_sendmsg sendmsg(MSG_INTERRUPT)
	s_mov_b32 m0, ttmp2
.LBB12_1265:                            ; =>This Inner Loop Header: Depth=1
	s_sethalt 5
	s_branch .LBB12_1265
.LBB12_1266:
	s_trap 2
	s_sendmsg_rtn_b32 s0, sendmsg(MSG_RTN_GET_DOORBELL)
	s_mov_b32 ttmp2, m0
	s_waitcnt lgkmcnt(0)
	s_and_b32 s0, s0, 0x3ff
	s_delay_alu instid0(SALU_CYCLE_1) | instskip(NEXT) | instid1(SALU_CYCLE_1)
	s_bitset1_b32 s0, 10
	s_mov_b32 m0, s0
	s_sendmsg sendmsg(MSG_INTERRUPT)
	s_mov_b32 m0, ttmp2
.LBB12_1267:                            ; =>This Inner Loop Header: Depth=1
	s_sethalt 5
	s_branch .LBB12_1267
.LBB12_1268:
	s_trap 2
	s_sendmsg_rtn_b32 s0, sendmsg(MSG_RTN_GET_DOORBELL)
	s_mov_b32 ttmp2, m0
	s_waitcnt lgkmcnt(0)
	s_and_b32 s0, s0, 0x3ff
	s_delay_alu instid0(SALU_CYCLE_1) | instskip(NEXT) | instid1(SALU_CYCLE_1)
	s_bitset1_b32 s0, 10
	s_mov_b32 m0, s0
	s_sendmsg sendmsg(MSG_INTERRUPT)
	s_mov_b32 m0, ttmp2
.LBB12_1269:                            ; =>This Inner Loop Header: Depth=1
	s_sethalt 5
	s_branch .LBB12_1269
.LBB12_1270:
	s_trap 2
	s_sendmsg_rtn_b32 s0, sendmsg(MSG_RTN_GET_DOORBELL)
	s_mov_b32 ttmp2, m0
	s_waitcnt lgkmcnt(0)
	s_and_b32 s0, s0, 0x3ff
	s_delay_alu instid0(SALU_CYCLE_1) | instskip(NEXT) | instid1(SALU_CYCLE_1)
	s_bitset1_b32 s0, 10
	s_mov_b32 m0, s0
	s_sendmsg sendmsg(MSG_INTERRUPT)
	s_mov_b32 m0, ttmp2
.LBB12_1271:                            ; =>This Inner Loop Header: Depth=1
	s_sethalt 5
	s_branch .LBB12_1271
.LBB12_1272:
	s_trap 2
	s_sendmsg_rtn_b32 s0, sendmsg(MSG_RTN_GET_DOORBELL)
	s_mov_b32 ttmp2, m0
	s_waitcnt lgkmcnt(0)
	s_and_b32 s0, s0, 0x3ff
	s_delay_alu instid0(SALU_CYCLE_1) | instskip(NEXT) | instid1(SALU_CYCLE_1)
	s_bitset1_b32 s0, 10
	s_mov_b32 m0, s0
	s_sendmsg sendmsg(MSG_INTERRUPT)
	s_mov_b32 m0, ttmp2
.LBB12_1273:                            ; =>This Inner Loop Header: Depth=1
	s_sethalt 5
	s_branch .LBB12_1273
.LBB12_1274:
	s_trap 2
	s_sendmsg_rtn_b32 s0, sendmsg(MSG_RTN_GET_DOORBELL)
	s_mov_b32 ttmp2, m0
	s_waitcnt lgkmcnt(0)
	s_and_b32 s0, s0, 0x3ff
	s_delay_alu instid0(SALU_CYCLE_1) | instskip(NEXT) | instid1(SALU_CYCLE_1)
	s_bitset1_b32 s0, 10
	s_mov_b32 m0, s0
	s_sendmsg sendmsg(MSG_INTERRUPT)
	s_mov_b32 m0, ttmp2
.LBB12_1275:                            ; =>This Inner Loop Header: Depth=1
	s_sethalt 5
	s_branch .LBB12_1275
.LBB12_1276:
	s_trap 2
	s_sendmsg_rtn_b32 s0, sendmsg(MSG_RTN_GET_DOORBELL)
	s_mov_b32 ttmp2, m0
	s_waitcnt lgkmcnt(0)
	s_and_b32 s0, s0, 0x3ff
	s_delay_alu instid0(SALU_CYCLE_1) | instskip(NEXT) | instid1(SALU_CYCLE_1)
	s_bitset1_b32 s0, 10
	s_mov_b32 m0, s0
	s_sendmsg sendmsg(MSG_INTERRUPT)
	s_mov_b32 m0, ttmp2
.LBB12_1277:                            ; =>This Inner Loop Header: Depth=1
	s_sethalt 5
	s_branch .LBB12_1277
.LBB12_1278:
	s_trap 2
	s_sendmsg_rtn_b32 s0, sendmsg(MSG_RTN_GET_DOORBELL)
	s_mov_b32 ttmp2, m0
	s_waitcnt lgkmcnt(0)
	s_and_b32 s0, s0, 0x3ff
	s_delay_alu instid0(SALU_CYCLE_1) | instskip(NEXT) | instid1(SALU_CYCLE_1)
	s_bitset1_b32 s0, 10
	s_mov_b32 m0, s0
	s_sendmsg sendmsg(MSG_INTERRUPT)
	s_mov_b32 m0, ttmp2
.LBB12_1279:                            ; =>This Inner Loop Header: Depth=1
	s_sethalt 5
	s_branch .LBB12_1279
.LBB12_1280:
	s_trap 2
	s_sendmsg_rtn_b32 s0, sendmsg(MSG_RTN_GET_DOORBELL)
	s_mov_b32 ttmp2, m0
	s_waitcnt lgkmcnt(0)
	s_and_b32 s0, s0, 0x3ff
	s_delay_alu instid0(SALU_CYCLE_1) | instskip(NEXT) | instid1(SALU_CYCLE_1)
	s_bitset1_b32 s0, 10
	s_mov_b32 m0, s0
	s_sendmsg sendmsg(MSG_INTERRUPT)
	s_mov_b32 m0, ttmp2
.LBB12_1281:                            ; =>This Inner Loop Header: Depth=1
	s_sethalt 5
	s_branch .LBB12_1281
.LBB12_1282:
	s_trap 2
	s_sendmsg_rtn_b32 s0, sendmsg(MSG_RTN_GET_DOORBELL)
	s_mov_b32 ttmp2, m0
	s_waitcnt lgkmcnt(0)
	s_and_b32 s0, s0, 0x3ff
	s_delay_alu instid0(SALU_CYCLE_1) | instskip(NEXT) | instid1(SALU_CYCLE_1)
	s_bitset1_b32 s0, 10
	s_mov_b32 m0, s0
	s_sendmsg sendmsg(MSG_INTERRUPT)
	s_mov_b32 m0, ttmp2
.LBB12_1283:                            ; =>This Inner Loop Header: Depth=1
	s_sethalt 5
	s_branch .LBB12_1283
.LBB12_1284:
	s_trap 2
	s_sendmsg_rtn_b32 s0, sendmsg(MSG_RTN_GET_DOORBELL)
	s_mov_b32 ttmp2, m0
	s_waitcnt lgkmcnt(0)
	s_and_b32 s0, s0, 0x3ff
	s_delay_alu instid0(SALU_CYCLE_1) | instskip(NEXT) | instid1(SALU_CYCLE_1)
	s_bitset1_b32 s0, 10
	s_mov_b32 m0, s0
	s_sendmsg sendmsg(MSG_INTERRUPT)
	s_mov_b32 m0, ttmp2
.LBB12_1285:                            ; =>This Inner Loop Header: Depth=1
	s_sethalt 5
	s_branch .LBB12_1285
.LBB12_1286:
	s_trap 2
	s_sendmsg_rtn_b32 s0, sendmsg(MSG_RTN_GET_DOORBELL)
	s_mov_b32 ttmp2, m0
	s_waitcnt lgkmcnt(0)
	s_and_b32 s0, s0, 0x3ff
	s_delay_alu instid0(SALU_CYCLE_1) | instskip(NEXT) | instid1(SALU_CYCLE_1)
	s_bitset1_b32 s0, 10
	s_mov_b32 m0, s0
	s_sendmsg sendmsg(MSG_INTERRUPT)
	s_mov_b32 m0, ttmp2
.LBB12_1287:                            ; =>This Inner Loop Header: Depth=1
	s_sethalt 5
	s_branch .LBB12_1287
.LBB12_1288:
	s_trap 2
	s_sendmsg_rtn_b32 s0, sendmsg(MSG_RTN_GET_DOORBELL)
	s_mov_b32 ttmp2, m0
	s_waitcnt lgkmcnt(0)
	s_and_b32 s0, s0, 0x3ff
	s_delay_alu instid0(SALU_CYCLE_1) | instskip(NEXT) | instid1(SALU_CYCLE_1)
	s_bitset1_b32 s0, 10
	s_mov_b32 m0, s0
	s_sendmsg sendmsg(MSG_INTERRUPT)
	s_mov_b32 m0, ttmp2
.LBB12_1289:                            ; =>This Inner Loop Header: Depth=1
	s_sethalt 5
	s_branch .LBB12_1289
.LBB12_1290:
	s_trap 2
	s_sendmsg_rtn_b32 s0, sendmsg(MSG_RTN_GET_DOORBELL)
	s_mov_b32 ttmp2, m0
	s_waitcnt lgkmcnt(0)
	s_and_b32 s0, s0, 0x3ff
	s_delay_alu instid0(SALU_CYCLE_1) | instskip(NEXT) | instid1(SALU_CYCLE_1)
	s_bitset1_b32 s0, 10
	s_mov_b32 m0, s0
	s_sendmsg sendmsg(MSG_INTERRUPT)
	s_mov_b32 m0, ttmp2
.LBB12_1291:                            ; =>This Inner Loop Header: Depth=1
	s_sethalt 5
	s_branch .LBB12_1291
.LBB12_1292:
	s_trap 2
	s_sendmsg_rtn_b32 s0, sendmsg(MSG_RTN_GET_DOORBELL)
	s_mov_b32 ttmp2, m0
	s_waitcnt lgkmcnt(0)
	s_and_b32 s0, s0, 0x3ff
	s_delay_alu instid0(SALU_CYCLE_1) | instskip(NEXT) | instid1(SALU_CYCLE_1)
	s_bitset1_b32 s0, 10
	s_mov_b32 m0, s0
	s_sendmsg sendmsg(MSG_INTERRUPT)
	s_mov_b32 m0, ttmp2
.LBB12_1293:                            ; =>This Inner Loop Header: Depth=1
	s_sethalt 5
	s_branch .LBB12_1293
.LBB12_1294:
	s_trap 2
	s_sendmsg_rtn_b32 s0, sendmsg(MSG_RTN_GET_DOORBELL)
	s_mov_b32 ttmp2, m0
	s_waitcnt lgkmcnt(0)
	s_and_b32 s0, s0, 0x3ff
	s_delay_alu instid0(SALU_CYCLE_1) | instskip(NEXT) | instid1(SALU_CYCLE_1)
	s_bitset1_b32 s0, 10
	s_mov_b32 m0, s0
	s_sendmsg sendmsg(MSG_INTERRUPT)
	s_mov_b32 m0, ttmp2
.LBB12_1295:                            ; =>This Inner Loop Header: Depth=1
	s_sethalt 5
	s_branch .LBB12_1295
.LBB12_1296:
	s_trap 2
	s_sendmsg_rtn_b32 s0, sendmsg(MSG_RTN_GET_DOORBELL)
	s_mov_b32 ttmp2, m0
	s_waitcnt lgkmcnt(0)
	s_and_b32 s0, s0, 0x3ff
	s_delay_alu instid0(SALU_CYCLE_1) | instskip(NEXT) | instid1(SALU_CYCLE_1)
	s_bitset1_b32 s0, 10
	s_mov_b32 m0, s0
	s_sendmsg sendmsg(MSG_INTERRUPT)
	s_mov_b32 m0, ttmp2
.LBB12_1297:                            ; =>This Inner Loop Header: Depth=1
	s_sethalt 5
	s_branch .LBB12_1297
.LBB12_1298:
	s_trap 2
	s_sendmsg_rtn_b32 s0, sendmsg(MSG_RTN_GET_DOORBELL)
	s_mov_b32 ttmp2, m0
	s_waitcnt lgkmcnt(0)
	s_and_b32 s0, s0, 0x3ff
	s_delay_alu instid0(SALU_CYCLE_1) | instskip(NEXT) | instid1(SALU_CYCLE_1)
	s_bitset1_b32 s0, 10
	s_mov_b32 m0, s0
	s_sendmsg sendmsg(MSG_INTERRUPT)
	s_mov_b32 m0, ttmp2
.LBB12_1299:                            ; =>This Inner Loop Header: Depth=1
	s_sethalt 5
	s_branch .LBB12_1299
.LBB12_1300:
	s_trap 2
	s_sendmsg_rtn_b32 s0, sendmsg(MSG_RTN_GET_DOORBELL)
	s_mov_b32 ttmp2, m0
	s_waitcnt lgkmcnt(0)
	s_and_b32 s0, s0, 0x3ff
	s_delay_alu instid0(SALU_CYCLE_1) | instskip(NEXT) | instid1(SALU_CYCLE_1)
	s_bitset1_b32 s0, 10
	s_mov_b32 m0, s0
	s_sendmsg sendmsg(MSG_INTERRUPT)
	s_mov_b32 m0, ttmp2
.LBB12_1301:                            ; =>This Inner Loop Header: Depth=1
	s_sethalt 5
	s_branch .LBB12_1301
.LBB12_1302:
	s_trap 2
	s_sendmsg_rtn_b32 s0, sendmsg(MSG_RTN_GET_DOORBELL)
	s_mov_b32 ttmp2, m0
	s_waitcnt lgkmcnt(0)
	s_and_b32 s0, s0, 0x3ff
	s_delay_alu instid0(SALU_CYCLE_1) | instskip(NEXT) | instid1(SALU_CYCLE_1)
	s_bitset1_b32 s0, 10
	s_mov_b32 m0, s0
	s_sendmsg sendmsg(MSG_INTERRUPT)
	s_mov_b32 m0, ttmp2
.LBB12_1303:                            ; =>This Inner Loop Header: Depth=1
	s_sethalt 5
	s_branch .LBB12_1303
.LBB12_1304:
	s_trap 2
	s_sendmsg_rtn_b32 s0, sendmsg(MSG_RTN_GET_DOORBELL)
	s_mov_b32 ttmp2, m0
	s_waitcnt lgkmcnt(0)
	s_and_b32 s0, s0, 0x3ff
	s_delay_alu instid0(SALU_CYCLE_1) | instskip(NEXT) | instid1(SALU_CYCLE_1)
	s_bitset1_b32 s0, 10
	s_mov_b32 m0, s0
	s_sendmsg sendmsg(MSG_INTERRUPT)
	s_mov_b32 m0, ttmp2
.LBB12_1305:                            ; =>This Inner Loop Header: Depth=1
	s_sethalt 5
	s_branch .LBB12_1305
.LBB12_1306:
	s_trap 2
	s_sendmsg_rtn_b32 s0, sendmsg(MSG_RTN_GET_DOORBELL)
	s_mov_b32 ttmp2, m0
	s_waitcnt lgkmcnt(0)
	s_and_b32 s0, s0, 0x3ff
	s_delay_alu instid0(SALU_CYCLE_1) | instskip(NEXT) | instid1(SALU_CYCLE_1)
	s_bitset1_b32 s0, 10
	s_mov_b32 m0, s0
	s_sendmsg sendmsg(MSG_INTERRUPT)
	s_mov_b32 m0, ttmp2
.LBB12_1307:                            ; =>This Inner Loop Header: Depth=1
	s_sethalt 5
	s_branch .LBB12_1307
.LBB12_1308:
	s_trap 2
	s_sendmsg_rtn_b32 s0, sendmsg(MSG_RTN_GET_DOORBELL)
	s_mov_b32 ttmp2, m0
	s_waitcnt lgkmcnt(0)
	s_and_b32 s0, s0, 0x3ff
	s_delay_alu instid0(SALU_CYCLE_1) | instskip(NEXT) | instid1(SALU_CYCLE_1)
	s_bitset1_b32 s0, 10
	s_mov_b32 m0, s0
	s_sendmsg sendmsg(MSG_INTERRUPT)
	s_mov_b32 m0, ttmp2
.LBB12_1309:                            ; =>This Inner Loop Header: Depth=1
	s_sethalt 5
	s_branch .LBB12_1309
.LBB12_1310:
	s_trap 2
	s_sendmsg_rtn_b32 s0, sendmsg(MSG_RTN_GET_DOORBELL)
	s_mov_b32 ttmp2, m0
	s_waitcnt lgkmcnt(0)
	s_and_b32 s0, s0, 0x3ff
	s_delay_alu instid0(SALU_CYCLE_1) | instskip(NEXT) | instid1(SALU_CYCLE_1)
	s_bitset1_b32 s0, 10
	s_mov_b32 m0, s0
	s_sendmsg sendmsg(MSG_INTERRUPT)
	s_mov_b32 m0, ttmp2
.LBB12_1311:                            ; =>This Inner Loop Header: Depth=1
	s_sethalt 5
	s_branch .LBB12_1311
.LBB12_1312:
	s_trap 2
	s_sendmsg_rtn_b32 s0, sendmsg(MSG_RTN_GET_DOORBELL)
	s_mov_b32 ttmp2, m0
	s_waitcnt lgkmcnt(0)
	s_and_b32 s0, s0, 0x3ff
	s_delay_alu instid0(SALU_CYCLE_1) | instskip(NEXT) | instid1(SALU_CYCLE_1)
	s_bitset1_b32 s0, 10
	s_mov_b32 m0, s0
	s_sendmsg sendmsg(MSG_INTERRUPT)
	s_mov_b32 m0, ttmp2
.LBB12_1313:                            ; =>This Inner Loop Header: Depth=1
	s_sethalt 5
	s_branch .LBB12_1313
.LBB12_1314:
	s_trap 2
	s_sendmsg_rtn_b32 s0, sendmsg(MSG_RTN_GET_DOORBELL)
	s_mov_b32 ttmp2, m0
	s_waitcnt lgkmcnt(0)
	s_and_b32 s0, s0, 0x3ff
	s_delay_alu instid0(SALU_CYCLE_1) | instskip(NEXT) | instid1(SALU_CYCLE_1)
	s_bitset1_b32 s0, 10
	s_mov_b32 m0, s0
	s_sendmsg sendmsg(MSG_INTERRUPT)
	s_mov_b32 m0, ttmp2
.LBB12_1315:                            ; =>This Inner Loop Header: Depth=1
	s_sethalt 5
	s_branch .LBB12_1315
.LBB12_1316:
	s_trap 2
	s_sendmsg_rtn_b32 s0, sendmsg(MSG_RTN_GET_DOORBELL)
	s_mov_b32 ttmp2, m0
	s_waitcnt lgkmcnt(0)
	s_and_b32 s0, s0, 0x3ff
	s_delay_alu instid0(SALU_CYCLE_1) | instskip(NEXT) | instid1(SALU_CYCLE_1)
	s_bitset1_b32 s0, 10
	s_mov_b32 m0, s0
	s_sendmsg sendmsg(MSG_INTERRUPT)
	s_mov_b32 m0, ttmp2
.LBB12_1317:                            ; =>This Inner Loop Header: Depth=1
	s_sethalt 5
	s_branch .LBB12_1317
.LBB12_1318:
	s_trap 2
	s_sendmsg_rtn_b32 s0, sendmsg(MSG_RTN_GET_DOORBELL)
	s_mov_b32 ttmp2, m0
	s_waitcnt lgkmcnt(0)
	s_and_b32 s0, s0, 0x3ff
	s_delay_alu instid0(SALU_CYCLE_1) | instskip(NEXT) | instid1(SALU_CYCLE_1)
	s_bitset1_b32 s0, 10
	s_mov_b32 m0, s0
	s_sendmsg sendmsg(MSG_INTERRUPT)
	s_mov_b32 m0, ttmp2
.LBB12_1319:                            ; =>This Inner Loop Header: Depth=1
	s_sethalt 5
	s_branch .LBB12_1319
.LBB12_1320:
	s_trap 2
	s_sendmsg_rtn_b32 s0, sendmsg(MSG_RTN_GET_DOORBELL)
	s_mov_b32 ttmp2, m0
	s_waitcnt lgkmcnt(0)
	s_and_b32 s0, s0, 0x3ff
	s_delay_alu instid0(SALU_CYCLE_1) | instskip(NEXT) | instid1(SALU_CYCLE_1)
	s_bitset1_b32 s0, 10
	s_mov_b32 m0, s0
	s_sendmsg sendmsg(MSG_INTERRUPT)
	s_mov_b32 m0, ttmp2
.LBB12_1321:                            ; =>This Inner Loop Header: Depth=1
	s_sethalt 5
	s_branch .LBB12_1321
.LBB12_1322:
	s_trap 2
	s_sendmsg_rtn_b32 s0, sendmsg(MSG_RTN_GET_DOORBELL)
	s_mov_b32 ttmp2, m0
	s_waitcnt lgkmcnt(0)
	s_and_b32 s0, s0, 0x3ff
	s_delay_alu instid0(SALU_CYCLE_1) | instskip(NEXT) | instid1(SALU_CYCLE_1)
	s_bitset1_b32 s0, 10
	s_mov_b32 m0, s0
	s_sendmsg sendmsg(MSG_INTERRUPT)
	s_mov_b32 m0, ttmp2
.LBB12_1323:                            ; =>This Inner Loop Header: Depth=1
	s_sethalt 5
	s_branch .LBB12_1323
.LBB12_1324:
	s_trap 2
	s_sendmsg_rtn_b32 s0, sendmsg(MSG_RTN_GET_DOORBELL)
	s_mov_b32 ttmp2, m0
	s_waitcnt lgkmcnt(0)
	s_and_b32 s0, s0, 0x3ff
	s_delay_alu instid0(SALU_CYCLE_1) | instskip(NEXT) | instid1(SALU_CYCLE_1)
	s_bitset1_b32 s0, 10
	s_mov_b32 m0, s0
	s_sendmsg sendmsg(MSG_INTERRUPT)
	s_mov_b32 m0, ttmp2
.LBB12_1325:                            ; =>This Inner Loop Header: Depth=1
	s_sethalt 5
	s_branch .LBB12_1325
.LBB12_1326:
	s_trap 2
	s_sendmsg_rtn_b32 s0, sendmsg(MSG_RTN_GET_DOORBELL)
	s_mov_b32 ttmp2, m0
	s_waitcnt lgkmcnt(0)
	s_and_b32 s0, s0, 0x3ff
	s_delay_alu instid0(SALU_CYCLE_1) | instskip(NEXT) | instid1(SALU_CYCLE_1)
	s_bitset1_b32 s0, 10
	s_mov_b32 m0, s0
	s_sendmsg sendmsg(MSG_INTERRUPT)
	s_mov_b32 m0, ttmp2
.LBB12_1327:                            ; =>This Inner Loop Header: Depth=1
	s_sethalt 5
	s_branch .LBB12_1327
.LBB12_1328:
	s_trap 2
	s_sendmsg_rtn_b32 s0, sendmsg(MSG_RTN_GET_DOORBELL)
	s_mov_b32 ttmp2, m0
	s_waitcnt lgkmcnt(0)
	s_and_b32 s0, s0, 0x3ff
	s_delay_alu instid0(SALU_CYCLE_1) | instskip(NEXT) | instid1(SALU_CYCLE_1)
	s_bitset1_b32 s0, 10
	s_mov_b32 m0, s0
	s_sendmsg sendmsg(MSG_INTERRUPT)
	s_mov_b32 m0, ttmp2
.LBB12_1329:                            ; =>This Inner Loop Header: Depth=1
	s_sethalt 5
	s_branch .LBB12_1329
.LBB12_1330:
	s_trap 2
	s_sendmsg_rtn_b32 s0, sendmsg(MSG_RTN_GET_DOORBELL)
	s_mov_b32 ttmp2, m0
	s_waitcnt lgkmcnt(0)
	s_and_b32 s0, s0, 0x3ff
	s_delay_alu instid0(SALU_CYCLE_1) | instskip(NEXT) | instid1(SALU_CYCLE_1)
	s_bitset1_b32 s0, 10
	s_mov_b32 m0, s0
	s_sendmsg sendmsg(MSG_INTERRUPT)
	s_mov_b32 m0, ttmp2
.LBB12_1331:                            ; =>This Inner Loop Header: Depth=1
	s_sethalt 5
	s_branch .LBB12_1331
.LBB12_1332:
	s_trap 2
	s_sendmsg_rtn_b32 s0, sendmsg(MSG_RTN_GET_DOORBELL)
	s_mov_b32 ttmp2, m0
	s_waitcnt lgkmcnt(0)
	s_and_b32 s0, s0, 0x3ff
	s_delay_alu instid0(SALU_CYCLE_1) | instskip(NEXT) | instid1(SALU_CYCLE_1)
	s_bitset1_b32 s0, 10
	s_mov_b32 m0, s0
	s_sendmsg sendmsg(MSG_INTERRUPT)
	s_mov_b32 m0, ttmp2
.LBB12_1333:                            ; =>This Inner Loop Header: Depth=1
	s_sethalt 5
	s_branch .LBB12_1333
.LBB12_1334:
	s_trap 2
	s_sendmsg_rtn_b32 s0, sendmsg(MSG_RTN_GET_DOORBELL)
	s_mov_b32 ttmp2, m0
	s_waitcnt lgkmcnt(0)
	s_and_b32 s0, s0, 0x3ff
	s_delay_alu instid0(SALU_CYCLE_1) | instskip(NEXT) | instid1(SALU_CYCLE_1)
	s_bitset1_b32 s0, 10
	s_mov_b32 m0, s0
	s_sendmsg sendmsg(MSG_INTERRUPT)
	s_mov_b32 m0, ttmp2
.LBB12_1335:                            ; =>This Inner Loop Header: Depth=1
	s_sethalt 5
	s_branch .LBB12_1335
.LBB12_1336:
	s_trap 2
	s_sendmsg_rtn_b32 s0, sendmsg(MSG_RTN_GET_DOORBELL)
	s_mov_b32 ttmp2, m0
	s_waitcnt lgkmcnt(0)
	s_and_b32 s0, s0, 0x3ff
	s_delay_alu instid0(SALU_CYCLE_1) | instskip(NEXT) | instid1(SALU_CYCLE_1)
	s_bitset1_b32 s0, 10
	s_mov_b32 m0, s0
	s_sendmsg sendmsg(MSG_INTERRUPT)
	s_mov_b32 m0, ttmp2
.LBB12_1337:                            ; =>This Inner Loop Header: Depth=1
	s_sethalt 5
	s_branch .LBB12_1337
.LBB12_1338:
	s_trap 2
	s_sendmsg_rtn_b32 s0, sendmsg(MSG_RTN_GET_DOORBELL)
	s_mov_b32 ttmp2, m0
	s_waitcnt lgkmcnt(0)
	s_and_b32 s0, s0, 0x3ff
	s_delay_alu instid0(SALU_CYCLE_1) | instskip(NEXT) | instid1(SALU_CYCLE_1)
	s_bitset1_b32 s0, 10
	s_mov_b32 m0, s0
	s_sendmsg sendmsg(MSG_INTERRUPT)
	s_mov_b32 m0, ttmp2
.LBB12_1339:                            ; =>This Inner Loop Header: Depth=1
	s_sethalt 5
	s_branch .LBB12_1339
.LBB12_1340:
	s_trap 2
	s_sendmsg_rtn_b32 s0, sendmsg(MSG_RTN_GET_DOORBELL)
	s_mov_b32 ttmp2, m0
	s_waitcnt lgkmcnt(0)
	s_and_b32 s0, s0, 0x3ff
	s_delay_alu instid0(SALU_CYCLE_1) | instskip(NEXT) | instid1(SALU_CYCLE_1)
	s_bitset1_b32 s0, 10
	s_mov_b32 m0, s0
	s_sendmsg sendmsg(MSG_INTERRUPT)
	s_mov_b32 m0, ttmp2
.LBB12_1341:                            ; =>This Inner Loop Header: Depth=1
	s_sethalt 5
	s_branch .LBB12_1341
.LBB12_1342:
	s_trap 2
	s_sendmsg_rtn_b32 s0, sendmsg(MSG_RTN_GET_DOORBELL)
	s_mov_b32 ttmp2, m0
	s_waitcnt lgkmcnt(0)
	s_and_b32 s0, s0, 0x3ff
	s_delay_alu instid0(SALU_CYCLE_1) | instskip(NEXT) | instid1(SALU_CYCLE_1)
	s_bitset1_b32 s0, 10
	s_mov_b32 m0, s0
	s_sendmsg sendmsg(MSG_INTERRUPT)
	s_mov_b32 m0, ttmp2
.LBB12_1343:                            ; =>This Inner Loop Header: Depth=1
	s_sethalt 5
	s_branch .LBB12_1343
.LBB12_1344:
	s_trap 2
	s_sendmsg_rtn_b32 s0, sendmsg(MSG_RTN_GET_DOORBELL)
	s_mov_b32 ttmp2, m0
	s_waitcnt lgkmcnt(0)
	s_and_b32 s0, s0, 0x3ff
	s_delay_alu instid0(SALU_CYCLE_1) | instskip(NEXT) | instid1(SALU_CYCLE_1)
	s_bitset1_b32 s0, 10
	s_mov_b32 m0, s0
	s_sendmsg sendmsg(MSG_INTERRUPT)
	s_mov_b32 m0, ttmp2
.LBB12_1345:                            ; =>This Inner Loop Header: Depth=1
	s_sethalt 5
	s_branch .LBB12_1345
.LBB12_1346:
	s_trap 2
	s_sendmsg_rtn_b32 s0, sendmsg(MSG_RTN_GET_DOORBELL)
	s_mov_b32 ttmp2, m0
	s_waitcnt lgkmcnt(0)
	s_and_b32 s0, s0, 0x3ff
	s_delay_alu instid0(SALU_CYCLE_1) | instskip(NEXT) | instid1(SALU_CYCLE_1)
	s_bitset1_b32 s0, 10
	s_mov_b32 m0, s0
	s_sendmsg sendmsg(MSG_INTERRUPT)
	s_mov_b32 m0, ttmp2
.LBB12_1347:                            ; =>This Inner Loop Header: Depth=1
	s_sethalt 5
	s_branch .LBB12_1347
.LBB12_1348:
	s_trap 2
	s_sendmsg_rtn_b32 s0, sendmsg(MSG_RTN_GET_DOORBELL)
	s_mov_b32 ttmp2, m0
	s_waitcnt lgkmcnt(0)
	s_and_b32 s0, s0, 0x3ff
	s_delay_alu instid0(SALU_CYCLE_1) | instskip(NEXT) | instid1(SALU_CYCLE_1)
	s_bitset1_b32 s0, 10
	s_mov_b32 m0, s0
	s_sendmsg sendmsg(MSG_INTERRUPT)
	s_mov_b32 m0, ttmp2
.LBB12_1349:                            ; =>This Inner Loop Header: Depth=1
	s_sethalt 5
	s_branch .LBB12_1349
.LBB12_1350:
	s_trap 2
	s_sendmsg_rtn_b32 s0, sendmsg(MSG_RTN_GET_DOORBELL)
	s_mov_b32 ttmp2, m0
	s_waitcnt lgkmcnt(0)
	s_and_b32 s0, s0, 0x3ff
	s_delay_alu instid0(SALU_CYCLE_1) | instskip(NEXT) | instid1(SALU_CYCLE_1)
	s_bitset1_b32 s0, 10
	s_mov_b32 m0, s0
	s_sendmsg sendmsg(MSG_INTERRUPT)
	s_mov_b32 m0, ttmp2
.LBB12_1351:                            ; =>This Inner Loop Header: Depth=1
	s_sethalt 5
	s_branch .LBB12_1351
.LBB12_1352:
	s_trap 2
	s_sendmsg_rtn_b32 s0, sendmsg(MSG_RTN_GET_DOORBELL)
	s_mov_b32 ttmp2, m0
	s_waitcnt lgkmcnt(0)
	s_and_b32 s0, s0, 0x3ff
	s_delay_alu instid0(SALU_CYCLE_1) | instskip(NEXT) | instid1(SALU_CYCLE_1)
	s_bitset1_b32 s0, 10
	s_mov_b32 m0, s0
	s_sendmsg sendmsg(MSG_INTERRUPT)
	s_mov_b32 m0, ttmp2
.LBB12_1353:                            ; =>This Inner Loop Header: Depth=1
	s_sethalt 5
	s_branch .LBB12_1353
.LBB12_1354:
	s_trap 2
	s_sendmsg_rtn_b32 s0, sendmsg(MSG_RTN_GET_DOORBELL)
	s_mov_b32 ttmp2, m0
	s_waitcnt lgkmcnt(0)
	s_and_b32 s0, s0, 0x3ff
	s_delay_alu instid0(SALU_CYCLE_1) | instskip(NEXT) | instid1(SALU_CYCLE_1)
	s_bitset1_b32 s0, 10
	s_mov_b32 m0, s0
	s_sendmsg sendmsg(MSG_INTERRUPT)
	s_mov_b32 m0, ttmp2
.LBB12_1355:                            ; =>This Inner Loop Header: Depth=1
	s_sethalt 5
	s_branch .LBB12_1355
.LBB12_1356:
	s_trap 2
	s_sendmsg_rtn_b32 s0, sendmsg(MSG_RTN_GET_DOORBELL)
	s_mov_b32 ttmp2, m0
	s_waitcnt lgkmcnt(0)
	s_and_b32 s0, s0, 0x3ff
	s_delay_alu instid0(SALU_CYCLE_1) | instskip(NEXT) | instid1(SALU_CYCLE_1)
	s_bitset1_b32 s0, 10
	s_mov_b32 m0, s0
	s_sendmsg sendmsg(MSG_INTERRUPT)
	s_mov_b32 m0, ttmp2
.LBB12_1357:                            ; =>This Inner Loop Header: Depth=1
	s_sethalt 5
	s_branch .LBB12_1357
.LBB12_1358:
	s_trap 2
	s_sendmsg_rtn_b32 s0, sendmsg(MSG_RTN_GET_DOORBELL)
	s_mov_b32 ttmp2, m0
	s_waitcnt lgkmcnt(0)
	s_and_b32 s0, s0, 0x3ff
	s_delay_alu instid0(SALU_CYCLE_1) | instskip(NEXT) | instid1(SALU_CYCLE_1)
	s_bitset1_b32 s0, 10
	s_mov_b32 m0, s0
	s_sendmsg sendmsg(MSG_INTERRUPT)
	s_mov_b32 m0, ttmp2
.LBB12_1359:                            ; =>This Inner Loop Header: Depth=1
	s_sethalt 5
	s_branch .LBB12_1359
.LBB12_1360:
	s_trap 2
	s_sendmsg_rtn_b32 s0, sendmsg(MSG_RTN_GET_DOORBELL)
	s_mov_b32 ttmp2, m0
	s_waitcnt lgkmcnt(0)
	s_and_b32 s0, s0, 0x3ff
	s_delay_alu instid0(SALU_CYCLE_1) | instskip(NEXT) | instid1(SALU_CYCLE_1)
	s_bitset1_b32 s0, 10
	s_mov_b32 m0, s0
	s_sendmsg sendmsg(MSG_INTERRUPT)
	s_mov_b32 m0, ttmp2
.LBB12_1361:                            ; =>This Inner Loop Header: Depth=1
	s_sethalt 5
	s_branch .LBB12_1361
.LBB12_1362:
	s_trap 2
	s_sendmsg_rtn_b32 s0, sendmsg(MSG_RTN_GET_DOORBELL)
	s_mov_b32 ttmp2, m0
	s_waitcnt lgkmcnt(0)
	s_and_b32 s0, s0, 0x3ff
	s_delay_alu instid0(SALU_CYCLE_1) | instskip(NEXT) | instid1(SALU_CYCLE_1)
	s_bitset1_b32 s0, 10
	s_mov_b32 m0, s0
	s_sendmsg sendmsg(MSG_INTERRUPT)
	s_mov_b32 m0, ttmp2
.LBB12_1363:                            ; =>This Inner Loop Header: Depth=1
	s_sethalt 5
	s_branch .LBB12_1363
.LBB12_1364:
	s_trap 2
	s_sendmsg_rtn_b32 s0, sendmsg(MSG_RTN_GET_DOORBELL)
	s_mov_b32 ttmp2, m0
	s_waitcnt lgkmcnt(0)
	s_and_b32 s0, s0, 0x3ff
	s_delay_alu instid0(SALU_CYCLE_1) | instskip(NEXT) | instid1(SALU_CYCLE_1)
	s_bitset1_b32 s0, 10
	s_mov_b32 m0, s0
	s_sendmsg sendmsg(MSG_INTERRUPT)
	s_mov_b32 m0, ttmp2
.LBB12_1365:                            ; =>This Inner Loop Header: Depth=1
	s_sethalt 5
	s_branch .LBB12_1365
.LBB12_1366:
	s_trap 2
	s_sendmsg_rtn_b32 s0, sendmsg(MSG_RTN_GET_DOORBELL)
	s_mov_b32 ttmp2, m0
	s_waitcnt lgkmcnt(0)
	s_and_b32 s0, s0, 0x3ff
	s_delay_alu instid0(SALU_CYCLE_1) | instskip(NEXT) | instid1(SALU_CYCLE_1)
	s_bitset1_b32 s0, 10
	s_mov_b32 m0, s0
	s_sendmsg sendmsg(MSG_INTERRUPT)
	s_mov_b32 m0, ttmp2
.LBB12_1367:                            ; =>This Inner Loop Header: Depth=1
	s_sethalt 5
	s_branch .LBB12_1367
.LBB12_1368:
	s_trap 2
	s_sendmsg_rtn_b32 s0, sendmsg(MSG_RTN_GET_DOORBELL)
	s_mov_b32 ttmp2, m0
	s_waitcnt lgkmcnt(0)
	s_and_b32 s0, s0, 0x3ff
	s_delay_alu instid0(SALU_CYCLE_1) | instskip(NEXT) | instid1(SALU_CYCLE_1)
	s_bitset1_b32 s0, 10
	s_mov_b32 m0, s0
	s_sendmsg sendmsg(MSG_INTERRUPT)
	s_mov_b32 m0, ttmp2
.LBB12_1369:                            ; =>This Inner Loop Header: Depth=1
	s_sethalt 5
	s_branch .LBB12_1369
.LBB12_1370:
	s_trap 2
	s_sendmsg_rtn_b32 s0, sendmsg(MSG_RTN_GET_DOORBELL)
	s_mov_b32 ttmp2, m0
	s_waitcnt lgkmcnt(0)
	s_and_b32 s0, s0, 0x3ff
	s_delay_alu instid0(SALU_CYCLE_1) | instskip(NEXT) | instid1(SALU_CYCLE_1)
	s_bitset1_b32 s0, 10
	s_mov_b32 m0, s0
	s_sendmsg sendmsg(MSG_INTERRUPT)
	s_mov_b32 m0, ttmp2
.LBB12_1371:                            ; =>This Inner Loop Header: Depth=1
	s_sethalt 5
	s_branch .LBB12_1371
.LBB12_1372:
	s_trap 2
	s_sendmsg_rtn_b32 s0, sendmsg(MSG_RTN_GET_DOORBELL)
	s_mov_b32 ttmp2, m0
	s_waitcnt lgkmcnt(0)
	s_and_b32 s0, s0, 0x3ff
	s_delay_alu instid0(SALU_CYCLE_1) | instskip(NEXT) | instid1(SALU_CYCLE_1)
	s_bitset1_b32 s0, 10
	s_mov_b32 m0, s0
	s_sendmsg sendmsg(MSG_INTERRUPT)
	s_mov_b32 m0, ttmp2
.LBB12_1373:                            ; =>This Inner Loop Header: Depth=1
	s_sethalt 5
	s_branch .LBB12_1373
.LBB12_1374:
	s_trap 2
	s_sendmsg_rtn_b32 s0, sendmsg(MSG_RTN_GET_DOORBELL)
	s_mov_b32 ttmp2, m0
	s_waitcnt lgkmcnt(0)
	s_and_b32 s0, s0, 0x3ff
	s_delay_alu instid0(SALU_CYCLE_1) | instskip(NEXT) | instid1(SALU_CYCLE_1)
	s_bitset1_b32 s0, 10
	s_mov_b32 m0, s0
	s_sendmsg sendmsg(MSG_INTERRUPT)
	s_mov_b32 m0, ttmp2
.LBB12_1375:                            ; =>This Inner Loop Header: Depth=1
	s_sethalt 5
	s_branch .LBB12_1375
.LBB12_1376:
	s_trap 2
	s_sendmsg_rtn_b32 s0, sendmsg(MSG_RTN_GET_DOORBELL)
	s_mov_b32 ttmp2, m0
	s_waitcnt lgkmcnt(0)
	s_and_b32 s0, s0, 0x3ff
	s_delay_alu instid0(SALU_CYCLE_1) | instskip(NEXT) | instid1(SALU_CYCLE_1)
	s_bitset1_b32 s0, 10
	s_mov_b32 m0, s0
	s_sendmsg sendmsg(MSG_INTERRUPT)
	s_mov_b32 m0, ttmp2
.LBB12_1377:                            ; =>This Inner Loop Header: Depth=1
	s_sethalt 5
	s_branch .LBB12_1377
.LBB12_1378:
	s_trap 2
	s_sendmsg_rtn_b32 s0, sendmsg(MSG_RTN_GET_DOORBELL)
	s_mov_b32 ttmp2, m0
	s_waitcnt lgkmcnt(0)
	s_and_b32 s0, s0, 0x3ff
	s_delay_alu instid0(SALU_CYCLE_1) | instskip(NEXT) | instid1(SALU_CYCLE_1)
	s_bitset1_b32 s0, 10
	s_mov_b32 m0, s0
	s_sendmsg sendmsg(MSG_INTERRUPT)
	s_mov_b32 m0, ttmp2
.LBB12_1379:                            ; =>This Inner Loop Header: Depth=1
	s_sethalt 5
	s_branch .LBB12_1379
.LBB12_1380:
	s_trap 2
	s_sendmsg_rtn_b32 s0, sendmsg(MSG_RTN_GET_DOORBELL)
	s_mov_b32 ttmp2, m0
	s_waitcnt lgkmcnt(0)
	s_and_b32 s0, s0, 0x3ff
	s_delay_alu instid0(SALU_CYCLE_1) | instskip(NEXT) | instid1(SALU_CYCLE_1)
	s_bitset1_b32 s0, 10
	s_mov_b32 m0, s0
	s_sendmsg sendmsg(MSG_INTERRUPT)
	s_mov_b32 m0, ttmp2
.LBB12_1381:                            ; =>This Inner Loop Header: Depth=1
	s_sethalt 5
	s_branch .LBB12_1381
.LBB12_1382:
	s_trap 2
	s_sendmsg_rtn_b32 s0, sendmsg(MSG_RTN_GET_DOORBELL)
	s_mov_b32 ttmp2, m0
	s_waitcnt lgkmcnt(0)
	s_and_b32 s0, s0, 0x3ff
	s_delay_alu instid0(SALU_CYCLE_1) | instskip(NEXT) | instid1(SALU_CYCLE_1)
	s_bitset1_b32 s0, 10
	s_mov_b32 m0, s0
	s_sendmsg sendmsg(MSG_INTERRUPT)
	s_mov_b32 m0, ttmp2
.LBB12_1383:                            ; =>This Inner Loop Header: Depth=1
	s_sethalt 5
	s_branch .LBB12_1383
.LBB12_1384:
	s_trap 2
	s_sendmsg_rtn_b32 s0, sendmsg(MSG_RTN_GET_DOORBELL)
	s_mov_b32 ttmp2, m0
	s_waitcnt lgkmcnt(0)
	s_and_b32 s0, s0, 0x3ff
	s_delay_alu instid0(SALU_CYCLE_1) | instskip(NEXT) | instid1(SALU_CYCLE_1)
	s_bitset1_b32 s0, 10
	s_mov_b32 m0, s0
	s_sendmsg sendmsg(MSG_INTERRUPT)
	s_mov_b32 m0, ttmp2
.LBB12_1385:                            ; =>This Inner Loop Header: Depth=1
	s_sethalt 5
	s_branch .LBB12_1385
.LBB12_1386:
	s_trap 2
	s_sendmsg_rtn_b32 s0, sendmsg(MSG_RTN_GET_DOORBELL)
	s_mov_b32 ttmp2, m0
	s_waitcnt lgkmcnt(0)
	s_and_b32 s0, s0, 0x3ff
	s_delay_alu instid0(SALU_CYCLE_1) | instskip(NEXT) | instid1(SALU_CYCLE_1)
	s_bitset1_b32 s0, 10
	s_mov_b32 m0, s0
	s_sendmsg sendmsg(MSG_INTERRUPT)
	s_mov_b32 m0, ttmp2
.LBB12_1387:                            ; =>This Inner Loop Header: Depth=1
	s_sethalt 5
	s_branch .LBB12_1387
.LBB12_1388:
	s_trap 2
	s_sendmsg_rtn_b32 s0, sendmsg(MSG_RTN_GET_DOORBELL)
	s_mov_b32 ttmp2, m0
	s_waitcnt lgkmcnt(0)
	s_and_b32 s0, s0, 0x3ff
	s_delay_alu instid0(SALU_CYCLE_1) | instskip(NEXT) | instid1(SALU_CYCLE_1)
	s_bitset1_b32 s0, 10
	s_mov_b32 m0, s0
	s_sendmsg sendmsg(MSG_INTERRUPT)
	s_mov_b32 m0, ttmp2
.LBB12_1389:                            ; =>This Inner Loop Header: Depth=1
	s_sethalt 5
	s_branch .LBB12_1389
.LBB12_1390:
	s_trap 2
	s_sendmsg_rtn_b32 s0, sendmsg(MSG_RTN_GET_DOORBELL)
	s_mov_b32 ttmp2, m0
	s_waitcnt lgkmcnt(0)
	s_and_b32 s0, s0, 0x3ff
	s_delay_alu instid0(SALU_CYCLE_1) | instskip(NEXT) | instid1(SALU_CYCLE_1)
	s_bitset1_b32 s0, 10
	s_mov_b32 m0, s0
	s_sendmsg sendmsg(MSG_INTERRUPT)
	s_mov_b32 m0, ttmp2
.LBB12_1391:                            ; =>This Inner Loop Header: Depth=1
	s_sethalt 5
	s_branch .LBB12_1391
.LBB12_1392:
	s_trap 2
	s_sendmsg_rtn_b32 s0, sendmsg(MSG_RTN_GET_DOORBELL)
	s_mov_b32 ttmp2, m0
	s_waitcnt lgkmcnt(0)
	s_and_b32 s0, s0, 0x3ff
	s_delay_alu instid0(SALU_CYCLE_1) | instskip(NEXT) | instid1(SALU_CYCLE_1)
	s_bitset1_b32 s0, 10
	s_mov_b32 m0, s0
	s_sendmsg sendmsg(MSG_INTERRUPT)
	s_mov_b32 m0, ttmp2
.LBB12_1393:                            ; =>This Inner Loop Header: Depth=1
	s_sethalt 5
	s_branch .LBB12_1393
.LBB12_1394:
	s_trap 2
	s_sendmsg_rtn_b32 s0, sendmsg(MSG_RTN_GET_DOORBELL)
	s_mov_b32 ttmp2, m0
	s_waitcnt lgkmcnt(0)
	s_and_b32 s0, s0, 0x3ff
	s_delay_alu instid0(SALU_CYCLE_1) | instskip(NEXT) | instid1(SALU_CYCLE_1)
	s_bitset1_b32 s0, 10
	s_mov_b32 m0, s0
	s_sendmsg sendmsg(MSG_INTERRUPT)
	s_mov_b32 m0, ttmp2
.LBB12_1395:                            ; =>This Inner Loop Header: Depth=1
	s_sethalt 5
	s_branch .LBB12_1395
.LBB12_1396:
	s_trap 2
	s_sendmsg_rtn_b32 s0, sendmsg(MSG_RTN_GET_DOORBELL)
	s_mov_b32 ttmp2, m0
	s_waitcnt lgkmcnt(0)
	s_and_b32 s0, s0, 0x3ff
	s_delay_alu instid0(SALU_CYCLE_1) | instskip(NEXT) | instid1(SALU_CYCLE_1)
	s_bitset1_b32 s0, 10
	s_mov_b32 m0, s0
	s_sendmsg sendmsg(MSG_INTERRUPT)
	s_mov_b32 m0, ttmp2
.LBB12_1397:                            ; =>This Inner Loop Header: Depth=1
	s_sethalt 5
	s_branch .LBB12_1397
.LBB12_1398:
	s_trap 2
	s_sendmsg_rtn_b32 s0, sendmsg(MSG_RTN_GET_DOORBELL)
	s_mov_b32 ttmp2, m0
	s_waitcnt lgkmcnt(0)
	s_and_b32 s0, s0, 0x3ff
	s_delay_alu instid0(SALU_CYCLE_1) | instskip(NEXT) | instid1(SALU_CYCLE_1)
	s_bitset1_b32 s0, 10
	s_mov_b32 m0, s0
	s_sendmsg sendmsg(MSG_INTERRUPT)
	s_mov_b32 m0, ttmp2
.LBB12_1399:                            ; =>This Inner Loop Header: Depth=1
	s_sethalt 5
	s_branch .LBB12_1399
.LBB12_1400:
	s_trap 2
	s_sendmsg_rtn_b32 s0, sendmsg(MSG_RTN_GET_DOORBELL)
	s_mov_b32 ttmp2, m0
	s_waitcnt lgkmcnt(0)
	s_and_b32 s0, s0, 0x3ff
	s_delay_alu instid0(SALU_CYCLE_1) | instskip(NEXT) | instid1(SALU_CYCLE_1)
	s_bitset1_b32 s0, 10
	s_mov_b32 m0, s0
	s_sendmsg sendmsg(MSG_INTERRUPT)
	s_mov_b32 m0, ttmp2
.LBB12_1401:                            ; =>This Inner Loop Header: Depth=1
	s_sethalt 5
	s_branch .LBB12_1401
.LBB12_1402:
	s_trap 2
	s_sendmsg_rtn_b32 s0, sendmsg(MSG_RTN_GET_DOORBELL)
	s_mov_b32 ttmp2, m0
	s_waitcnt lgkmcnt(0)
	s_and_b32 s0, s0, 0x3ff
	s_delay_alu instid0(SALU_CYCLE_1) | instskip(NEXT) | instid1(SALU_CYCLE_1)
	s_bitset1_b32 s0, 10
	s_mov_b32 m0, s0
	s_sendmsg sendmsg(MSG_INTERRUPT)
	s_mov_b32 m0, ttmp2
.LBB12_1403:                            ; =>This Inner Loop Header: Depth=1
	s_sethalt 5
	s_branch .LBB12_1403
.LBB12_1404:
	s_trap 2
	s_sendmsg_rtn_b32 s0, sendmsg(MSG_RTN_GET_DOORBELL)
	s_mov_b32 ttmp2, m0
	s_waitcnt lgkmcnt(0)
	s_and_b32 s0, s0, 0x3ff
	s_delay_alu instid0(SALU_CYCLE_1) | instskip(NEXT) | instid1(SALU_CYCLE_1)
	s_bitset1_b32 s0, 10
	s_mov_b32 m0, s0
	s_sendmsg sendmsg(MSG_INTERRUPT)
	s_mov_b32 m0, ttmp2
.LBB12_1405:                            ; =>This Inner Loop Header: Depth=1
	s_sethalt 5
	s_branch .LBB12_1405
.LBB12_1406:
	s_trap 2
	s_sendmsg_rtn_b32 s0, sendmsg(MSG_RTN_GET_DOORBELL)
	s_mov_b32 ttmp2, m0
	s_waitcnt lgkmcnt(0)
	s_and_b32 s0, s0, 0x3ff
	s_delay_alu instid0(SALU_CYCLE_1) | instskip(NEXT) | instid1(SALU_CYCLE_1)
	s_bitset1_b32 s0, 10
	s_mov_b32 m0, s0
	s_sendmsg sendmsg(MSG_INTERRUPT)
	s_mov_b32 m0, ttmp2
.LBB12_1407:                            ; =>This Inner Loop Header: Depth=1
	s_sethalt 5
	s_branch .LBB12_1407
.LBB12_1408:
	s_trap 2
	s_sendmsg_rtn_b32 s0, sendmsg(MSG_RTN_GET_DOORBELL)
	s_mov_b32 ttmp2, m0
	s_waitcnt lgkmcnt(0)
	s_and_b32 s0, s0, 0x3ff
	s_delay_alu instid0(SALU_CYCLE_1) | instskip(NEXT) | instid1(SALU_CYCLE_1)
	s_bitset1_b32 s0, 10
	s_mov_b32 m0, s0
	s_sendmsg sendmsg(MSG_INTERRUPT)
	s_mov_b32 m0, ttmp2
.LBB12_1409:                            ; =>This Inner Loop Header: Depth=1
	s_sethalt 5
	s_branch .LBB12_1409
.LBB12_1410:
	s_trap 2
	s_sendmsg_rtn_b32 s0, sendmsg(MSG_RTN_GET_DOORBELL)
	s_mov_b32 ttmp2, m0
	s_waitcnt lgkmcnt(0)
	s_and_b32 s0, s0, 0x3ff
	s_delay_alu instid0(SALU_CYCLE_1) | instskip(NEXT) | instid1(SALU_CYCLE_1)
	s_bitset1_b32 s0, 10
	s_mov_b32 m0, s0
	s_sendmsg sendmsg(MSG_INTERRUPT)
	s_mov_b32 m0, ttmp2
.LBB12_1411:                            ; =>This Inner Loop Header: Depth=1
	s_sethalt 5
	s_branch .LBB12_1411
.LBB12_1412:
	s_trap 2
	s_sendmsg_rtn_b32 s0, sendmsg(MSG_RTN_GET_DOORBELL)
	s_mov_b32 ttmp2, m0
	s_waitcnt lgkmcnt(0)
	s_and_b32 s0, s0, 0x3ff
	s_delay_alu instid0(SALU_CYCLE_1) | instskip(NEXT) | instid1(SALU_CYCLE_1)
	s_bitset1_b32 s0, 10
	s_mov_b32 m0, s0
	s_sendmsg sendmsg(MSG_INTERRUPT)
	s_mov_b32 m0, ttmp2
.LBB12_1413:                            ; =>This Inner Loop Header: Depth=1
	s_sethalt 5
	s_branch .LBB12_1413
.LBB12_1414:
	s_trap 2
	s_sendmsg_rtn_b32 s0, sendmsg(MSG_RTN_GET_DOORBELL)
	s_mov_b32 ttmp2, m0
	s_waitcnt lgkmcnt(0)
	s_and_b32 s0, s0, 0x3ff
	s_delay_alu instid0(SALU_CYCLE_1) | instskip(NEXT) | instid1(SALU_CYCLE_1)
	s_bitset1_b32 s0, 10
	s_mov_b32 m0, s0
	s_sendmsg sendmsg(MSG_INTERRUPT)
	s_mov_b32 m0, ttmp2
.LBB12_1415:                            ; =>This Inner Loop Header: Depth=1
	s_sethalt 5
	s_branch .LBB12_1415
.LBB12_1416:
	s_trap 2
	s_sendmsg_rtn_b32 s0, sendmsg(MSG_RTN_GET_DOORBELL)
	s_mov_b32 ttmp2, m0
	s_waitcnt lgkmcnt(0)
	s_and_b32 s0, s0, 0x3ff
	s_delay_alu instid0(SALU_CYCLE_1) | instskip(NEXT) | instid1(SALU_CYCLE_1)
	s_bitset1_b32 s0, 10
	s_mov_b32 m0, s0
	s_sendmsg sendmsg(MSG_INTERRUPT)
	s_mov_b32 m0, ttmp2
.LBB12_1417:                            ; =>This Inner Loop Header: Depth=1
	s_sethalt 5
	s_branch .LBB12_1417
.LBB12_1418:
	s_trap 2
	s_sendmsg_rtn_b32 s0, sendmsg(MSG_RTN_GET_DOORBELL)
	s_mov_b32 ttmp2, m0
	s_waitcnt lgkmcnt(0)
	s_and_b32 s0, s0, 0x3ff
	s_delay_alu instid0(SALU_CYCLE_1) | instskip(NEXT) | instid1(SALU_CYCLE_1)
	s_bitset1_b32 s0, 10
	s_mov_b32 m0, s0
	s_sendmsg sendmsg(MSG_INTERRUPT)
	s_mov_b32 m0, ttmp2
.LBB12_1419:                            ; =>This Inner Loop Header: Depth=1
	s_sethalt 5
	s_branch .LBB12_1419
.LBB12_1420:
	s_trap 2
	s_sendmsg_rtn_b32 s0, sendmsg(MSG_RTN_GET_DOORBELL)
	s_mov_b32 ttmp2, m0
	s_waitcnt lgkmcnt(0)
	s_and_b32 s0, s0, 0x3ff
	s_delay_alu instid0(SALU_CYCLE_1) | instskip(NEXT) | instid1(SALU_CYCLE_1)
	s_bitset1_b32 s0, 10
	s_mov_b32 m0, s0
	s_sendmsg sendmsg(MSG_INTERRUPT)
	s_mov_b32 m0, ttmp2
.LBB12_1421:                            ; =>This Inner Loop Header: Depth=1
	s_sethalt 5
	s_branch .LBB12_1421
.LBB12_1422:
	s_trap 2
	s_sendmsg_rtn_b32 s0, sendmsg(MSG_RTN_GET_DOORBELL)
	s_mov_b32 ttmp2, m0
	s_waitcnt lgkmcnt(0)
	s_and_b32 s0, s0, 0x3ff
	s_delay_alu instid0(SALU_CYCLE_1) | instskip(NEXT) | instid1(SALU_CYCLE_1)
	s_bitset1_b32 s0, 10
	s_mov_b32 m0, s0
	s_sendmsg sendmsg(MSG_INTERRUPT)
	s_mov_b32 m0, ttmp2
.LBB12_1423:                            ; =>This Inner Loop Header: Depth=1
	s_sethalt 5
	s_branch .LBB12_1423
.LBB12_1424:
	s_trap 2
	s_sendmsg_rtn_b32 s0, sendmsg(MSG_RTN_GET_DOORBELL)
	s_mov_b32 ttmp2, m0
	s_waitcnt lgkmcnt(0)
	s_and_b32 s0, s0, 0x3ff
	s_delay_alu instid0(SALU_CYCLE_1) | instskip(NEXT) | instid1(SALU_CYCLE_1)
	s_bitset1_b32 s0, 10
	s_mov_b32 m0, s0
	s_sendmsg sendmsg(MSG_INTERRUPT)
	s_mov_b32 m0, ttmp2
.LBB12_1425:                            ; =>This Inner Loop Header: Depth=1
	s_sethalt 5
	s_branch .LBB12_1425
.LBB12_1426:
	s_or_b32 exec_lo, exec_lo, s4
	s_and_saveexec_b32 s4, s5
	s_delay_alu instid0(SALU_CYCLE_1)
	s_xor_b32 s4, exec_lo, s4
	s_cbranch_execz .LBB12_1428
; %bb.1427:
	v_mov_b32_e32 v0, 1
	ds_store_b32 v0, v0
	s_cbranch_execnz .LBB12_1525
.LBB12_1428:
	s_or_b32 exec_lo, exec_lo, s3
	;;#ASMSTART
	s_wakeup
	;;#ASMEND
.LBB12_1429:
	s_or_b32 exec_lo, exec_lo, s2
.LBB12_1430:
	s_and_not1_saveexec_b32 s1, s1
	s_cbranch_execz .LBB12_1432
; %bb.1431:
	s_waitcnt lgkmcnt(0)
	s_waitcnt_vscnt null, 0x0
	buffer_gl1_inv
	buffer_gl0_inv
	s_barrier
.LBB12_1432:
	s_or_b32 exec_lo, exec_lo, s0
.LBB12_1433:
	s_and_not1_saveexec_b32 s22, s20
	s_cbranch_execz .LBB12_1435
; %bb.1434:
	s_getpc_b64 s[0:1]
	s_add_u32 s0, s0, __PRETTY_FUNCTION__._ZN10PrimitivesIa7FuncSumIaE12FanSymmetricILi1EELi0E11ProtoSimpleILi1ELi1ELi0ELi4ELi0ELi0EELi0ELb0ELi0ELi0ELi0EEC2EiiPKiS8_PKvPvmhhhP15ncclDevWorkCollP14ncclDevWorkP2pii@rel32@lo+4
	s_addc_u32 s1, s1, __PRETTY_FUNCTION__._ZN10PrimitivesIa7FuncSumIaE12FanSymmetricILi1EELi0E11ProtoSimpleILi1ELi1ELi0ELi4ELi0ELi0EELi0ELb0ELi0ELi0ELi0EEC2EiiPKiS8_PKvPvmhhhP15ncclDevWorkCollP14ncclDevWorkP2pii@rel32@hi+12
	s_delay_alu instid0(SALU_CYCLE_1) | instskip(SKIP_3) | instid1(SALU_CYCLE_1)
	v_dual_mov_b32 v0, s0 :: v_dual_mov_b32 v1, s1
	s_getpc_b64 s[2:3]
	s_add_u32 s2, s2, __assert_fail@rel32@lo+4
	s_addc_u32 s3, s3, __assert_fail@rel32@hi+12
	s_swappc_b64 s[30:31], s[2:3]
	; divergent unreachable
.LBB12_1435:
	s_or_b32 exec_lo, exec_lo, s22
.LBB12_1436:
	s_delay_alu instid0(SALU_CYCLE_1)
	s_or_b32 exec_lo, exec_lo, s21
	s_clause 0x17
	scratch_load_b32 v79, off, s33
	scratch_load_b32 v78, off, s33 offset:4
	scratch_load_b32 v77, off, s33 offset:8
	;; [unrolled: 1-line block ×23, first 2 shown]
	v_readlane_b32 s30, v88, 7
	v_readlane_b32 s31, v88, 8
	;; [unrolled: 1-line block ×10, first 2 shown]
	s_or_saveexec_b32 s1, -1
	s_clause 0x1
	scratch_load_b32 v88, off, s33 offset:96
	scratch_load_b32 v89, off, s33 offset:100
	s_mov_b32 exec_lo, s1
	s_addk_i32 s32, 0xff90
	s_mov_b32 s33, s0
	s_waitcnt vmcnt(0) lgkmcnt(0)
	s_setpc_b64 s[30:31]
.LBB12_1437:
	s_trap 2
	s_sendmsg_rtn_b32 s0, sendmsg(MSG_RTN_GET_DOORBELL)
	s_mov_b32 ttmp2, m0
	s_waitcnt lgkmcnt(0)
	s_and_b32 s0, s0, 0x3ff
	s_delay_alu instid0(SALU_CYCLE_1) | instskip(NEXT) | instid1(SALU_CYCLE_1)
	s_bitset1_b32 s0, 10
	s_mov_b32 m0, s0
	s_sendmsg sendmsg(MSG_INTERRUPT)
	s_mov_b32 m0, ttmp2
.LBB12_1438:                            ; =>This Inner Loop Header: Depth=1
	s_sethalt 5
	s_branch .LBB12_1438
.LBB12_1439:
	s_trap 2
	s_sendmsg_rtn_b32 s0, sendmsg(MSG_RTN_GET_DOORBELL)
	s_mov_b32 ttmp2, m0
	s_waitcnt lgkmcnt(0)
	s_and_b32 s0, s0, 0x3ff
	s_delay_alu instid0(SALU_CYCLE_1) | instskip(NEXT) | instid1(SALU_CYCLE_1)
	s_bitset1_b32 s0, 10
	s_mov_b32 m0, s0
	s_sendmsg sendmsg(MSG_INTERRUPT)
	s_mov_b32 m0, ttmp2
.LBB12_1440:                            ; =>This Inner Loop Header: Depth=1
	s_sethalt 5
	s_branch .LBB12_1440
.LBB12_1441:
	s_trap 2
	s_sendmsg_rtn_b32 s0, sendmsg(MSG_RTN_GET_DOORBELL)
	s_mov_b32 ttmp2, m0
	s_waitcnt lgkmcnt(0)
	s_and_b32 s0, s0, 0x3ff
	s_delay_alu instid0(SALU_CYCLE_1) | instskip(NEXT) | instid1(SALU_CYCLE_1)
	s_bitset1_b32 s0, 10
	s_mov_b32 m0, s0
	s_sendmsg sendmsg(MSG_INTERRUPT)
	s_mov_b32 m0, ttmp2
.LBB12_1442:                            ; =>This Inner Loop Header: Depth=1
	s_sethalt 5
	s_branch .LBB12_1442
.LBB12_1443:
	s_trap 2
	s_sendmsg_rtn_b32 s0, sendmsg(MSG_RTN_GET_DOORBELL)
	s_mov_b32 ttmp2, m0
	s_waitcnt lgkmcnt(0)
	s_and_b32 s0, s0, 0x3ff
	s_delay_alu instid0(SALU_CYCLE_1) | instskip(NEXT) | instid1(SALU_CYCLE_1)
	s_bitset1_b32 s0, 10
	s_mov_b32 m0, s0
	s_sendmsg sendmsg(MSG_INTERRUPT)
	s_mov_b32 m0, ttmp2
.LBB12_1444:                            ; =>This Inner Loop Header: Depth=1
	s_sethalt 5
	s_branch .LBB12_1444
.LBB12_1445:
	s_trap 2
	s_sendmsg_rtn_b32 s0, sendmsg(MSG_RTN_GET_DOORBELL)
	s_mov_b32 ttmp2, m0
	s_waitcnt lgkmcnt(0)
	s_and_b32 s0, s0, 0x3ff
	s_delay_alu instid0(SALU_CYCLE_1) | instskip(NEXT) | instid1(SALU_CYCLE_1)
	s_bitset1_b32 s0, 10
	s_mov_b32 m0, s0
	s_sendmsg sendmsg(MSG_INTERRUPT)
	s_mov_b32 m0, ttmp2
.LBB12_1446:                            ; =>This Inner Loop Header: Depth=1
	s_sethalt 5
	s_branch .LBB12_1446
.LBB12_1447:
	s_trap 2
	s_sendmsg_rtn_b32 s0, sendmsg(MSG_RTN_GET_DOORBELL)
	s_mov_b32 ttmp2, m0
	s_waitcnt lgkmcnt(0)
	s_and_b32 s0, s0, 0x3ff
	s_delay_alu instid0(SALU_CYCLE_1) | instskip(NEXT) | instid1(SALU_CYCLE_1)
	s_bitset1_b32 s0, 10
	s_mov_b32 m0, s0
	s_sendmsg sendmsg(MSG_INTERRUPT)
	s_mov_b32 m0, ttmp2
.LBB12_1448:                            ; =>This Inner Loop Header: Depth=1
	s_sethalt 5
	s_branch .LBB12_1448
.LBB12_1449:
	s_trap 2
	s_sendmsg_rtn_b32 s0, sendmsg(MSG_RTN_GET_DOORBELL)
	s_mov_b32 ttmp2, m0
	s_waitcnt lgkmcnt(0)
	s_and_b32 s0, s0, 0x3ff
	s_delay_alu instid0(SALU_CYCLE_1) | instskip(NEXT) | instid1(SALU_CYCLE_1)
	s_bitset1_b32 s0, 10
	s_mov_b32 m0, s0
	s_sendmsg sendmsg(MSG_INTERRUPT)
	s_mov_b32 m0, ttmp2
.LBB12_1450:                            ; =>This Inner Loop Header: Depth=1
	s_sethalt 5
	s_branch .LBB12_1450
.LBB12_1451:
	s_trap 2
	s_sendmsg_rtn_b32 s0, sendmsg(MSG_RTN_GET_DOORBELL)
	s_mov_b32 ttmp2, m0
	s_waitcnt lgkmcnt(0)
	s_and_b32 s0, s0, 0x3ff
	s_delay_alu instid0(SALU_CYCLE_1) | instskip(NEXT) | instid1(SALU_CYCLE_1)
	s_bitset1_b32 s0, 10
	s_mov_b32 m0, s0
	s_sendmsg sendmsg(MSG_INTERRUPT)
	s_mov_b32 m0, ttmp2
.LBB12_1452:                            ; =>This Inner Loop Header: Depth=1
	s_sethalt 5
	s_branch .LBB12_1452
.LBB12_1453:
	s_trap 2
	s_sendmsg_rtn_b32 s0, sendmsg(MSG_RTN_GET_DOORBELL)
	s_mov_b32 ttmp2, m0
	s_waitcnt lgkmcnt(0)
	s_and_b32 s0, s0, 0x3ff
	s_delay_alu instid0(SALU_CYCLE_1) | instskip(NEXT) | instid1(SALU_CYCLE_1)
	s_bitset1_b32 s0, 10
	s_mov_b32 m0, s0
	s_sendmsg sendmsg(MSG_INTERRUPT)
	s_mov_b32 m0, ttmp2
.LBB12_1454:                            ; =>This Inner Loop Header: Depth=1
	s_sethalt 5
	s_branch .LBB12_1454
.LBB12_1455:
	s_trap 2
	s_sendmsg_rtn_b32 s0, sendmsg(MSG_RTN_GET_DOORBELL)
	s_mov_b32 ttmp2, m0
	s_waitcnt lgkmcnt(0)
	s_and_b32 s0, s0, 0x3ff
	s_delay_alu instid0(SALU_CYCLE_1) | instskip(NEXT) | instid1(SALU_CYCLE_1)
	s_bitset1_b32 s0, 10
	s_mov_b32 m0, s0
	s_sendmsg sendmsg(MSG_INTERRUPT)
	s_mov_b32 m0, ttmp2
.LBB12_1456:                            ; =>This Inner Loop Header: Depth=1
	s_sethalt 5
	s_branch .LBB12_1456
.LBB12_1457:
	s_trap 2
	s_sendmsg_rtn_b32 s0, sendmsg(MSG_RTN_GET_DOORBELL)
	s_mov_b32 ttmp2, m0
	s_waitcnt lgkmcnt(0)
	s_and_b32 s0, s0, 0x3ff
	s_delay_alu instid0(SALU_CYCLE_1) | instskip(NEXT) | instid1(SALU_CYCLE_1)
	s_bitset1_b32 s0, 10
	s_mov_b32 m0, s0
	s_sendmsg sendmsg(MSG_INTERRUPT)
	s_mov_b32 m0, ttmp2
.LBB12_1458:                            ; =>This Inner Loop Header: Depth=1
	s_sethalt 5
	s_branch .LBB12_1458
.LBB12_1459:
	s_trap 2
	s_sendmsg_rtn_b32 s0, sendmsg(MSG_RTN_GET_DOORBELL)
	s_mov_b32 ttmp2, m0
	s_waitcnt lgkmcnt(0)
	s_and_b32 s0, s0, 0x3ff
	s_delay_alu instid0(SALU_CYCLE_1) | instskip(NEXT) | instid1(SALU_CYCLE_1)
	s_bitset1_b32 s0, 10
	s_mov_b32 m0, s0
	s_sendmsg sendmsg(MSG_INTERRUPT)
	s_mov_b32 m0, ttmp2
.LBB12_1460:                            ; =>This Inner Loop Header: Depth=1
	s_sethalt 5
	s_branch .LBB12_1460
.LBB12_1461:
	s_trap 2
	s_sendmsg_rtn_b32 s0, sendmsg(MSG_RTN_GET_DOORBELL)
	s_mov_b32 ttmp2, m0
	s_waitcnt lgkmcnt(0)
	s_and_b32 s0, s0, 0x3ff
	s_delay_alu instid0(SALU_CYCLE_1) | instskip(NEXT) | instid1(SALU_CYCLE_1)
	s_bitset1_b32 s0, 10
	s_mov_b32 m0, s0
	s_sendmsg sendmsg(MSG_INTERRUPT)
	s_mov_b32 m0, ttmp2
.LBB12_1462:                            ; =>This Inner Loop Header: Depth=1
	s_sethalt 5
	s_branch .LBB12_1462
.LBB12_1463:
	s_trap 2
	s_sendmsg_rtn_b32 s0, sendmsg(MSG_RTN_GET_DOORBELL)
	s_mov_b32 ttmp2, m0
	s_waitcnt lgkmcnt(0)
	s_and_b32 s0, s0, 0x3ff
	s_delay_alu instid0(SALU_CYCLE_1) | instskip(NEXT) | instid1(SALU_CYCLE_1)
	s_bitset1_b32 s0, 10
	s_mov_b32 m0, s0
	s_sendmsg sendmsg(MSG_INTERRUPT)
	s_mov_b32 m0, ttmp2
.LBB12_1464:                            ; =>This Inner Loop Header: Depth=1
	s_sethalt 5
	s_branch .LBB12_1464
.LBB12_1465:
	s_trap 2
	s_sendmsg_rtn_b32 s0, sendmsg(MSG_RTN_GET_DOORBELL)
	s_mov_b32 ttmp2, m0
	s_waitcnt lgkmcnt(0)
	s_and_b32 s0, s0, 0x3ff
	s_delay_alu instid0(SALU_CYCLE_1) | instskip(NEXT) | instid1(SALU_CYCLE_1)
	s_bitset1_b32 s0, 10
	s_mov_b32 m0, s0
	s_sendmsg sendmsg(MSG_INTERRUPT)
	s_mov_b32 m0, ttmp2
.LBB12_1466:                            ; =>This Inner Loop Header: Depth=1
	s_sethalt 5
	s_branch .LBB12_1466
.LBB12_1467:
	s_trap 2
	s_sendmsg_rtn_b32 s0, sendmsg(MSG_RTN_GET_DOORBELL)
	s_mov_b32 ttmp2, m0
	s_waitcnt lgkmcnt(0)
	s_and_b32 s0, s0, 0x3ff
	s_delay_alu instid0(SALU_CYCLE_1) | instskip(NEXT) | instid1(SALU_CYCLE_1)
	s_bitset1_b32 s0, 10
	s_mov_b32 m0, s0
	s_sendmsg sendmsg(MSG_INTERRUPT)
	s_mov_b32 m0, ttmp2
.LBB12_1468:                            ; =>This Inner Loop Header: Depth=1
	s_sethalt 5
	s_branch .LBB12_1468
.LBB12_1469:
	s_trap 2
	s_sendmsg_rtn_b32 s0, sendmsg(MSG_RTN_GET_DOORBELL)
	s_mov_b32 ttmp2, m0
	s_waitcnt lgkmcnt(0)
	s_and_b32 s0, s0, 0x3ff
	s_delay_alu instid0(SALU_CYCLE_1) | instskip(NEXT) | instid1(SALU_CYCLE_1)
	s_bitset1_b32 s0, 10
	s_mov_b32 m0, s0
	s_sendmsg sendmsg(MSG_INTERRUPT)
	s_mov_b32 m0, ttmp2
.LBB12_1470:                            ; =>This Inner Loop Header: Depth=1
	s_sethalt 5
	s_branch .LBB12_1470
.LBB12_1471:
	s_trap 2
	s_sendmsg_rtn_b32 s0, sendmsg(MSG_RTN_GET_DOORBELL)
	s_mov_b32 ttmp2, m0
	s_waitcnt lgkmcnt(0)
	s_and_b32 s0, s0, 0x3ff
	s_delay_alu instid0(SALU_CYCLE_1) | instskip(NEXT) | instid1(SALU_CYCLE_1)
	s_bitset1_b32 s0, 10
	s_mov_b32 m0, s0
	s_sendmsg sendmsg(MSG_INTERRUPT)
	s_mov_b32 m0, ttmp2
.LBB12_1472:                            ; =>This Inner Loop Header: Depth=1
	s_sethalt 5
	s_branch .LBB12_1472
.LBB12_1473:
	s_trap 2
	s_sendmsg_rtn_b32 s0, sendmsg(MSG_RTN_GET_DOORBELL)
	s_mov_b32 ttmp2, m0
	s_waitcnt lgkmcnt(0)
	s_and_b32 s0, s0, 0x3ff
	s_delay_alu instid0(SALU_CYCLE_1) | instskip(NEXT) | instid1(SALU_CYCLE_1)
	s_bitset1_b32 s0, 10
	s_mov_b32 m0, s0
	s_sendmsg sendmsg(MSG_INTERRUPT)
	s_mov_b32 m0, ttmp2
.LBB12_1474:                            ; =>This Inner Loop Header: Depth=1
	s_sethalt 5
	s_branch .LBB12_1474
.LBB12_1475:
	s_trap 2
	s_sendmsg_rtn_b32 s0, sendmsg(MSG_RTN_GET_DOORBELL)
	s_mov_b32 ttmp2, m0
	s_waitcnt lgkmcnt(0)
	s_and_b32 s0, s0, 0x3ff
	s_delay_alu instid0(SALU_CYCLE_1) | instskip(NEXT) | instid1(SALU_CYCLE_1)
	s_bitset1_b32 s0, 10
	s_mov_b32 m0, s0
	s_sendmsg sendmsg(MSG_INTERRUPT)
	s_mov_b32 m0, ttmp2
.LBB12_1476:                            ; =>This Inner Loop Header: Depth=1
	s_sethalt 5
	s_branch .LBB12_1476
.LBB12_1477:
	s_trap 2
	s_sendmsg_rtn_b32 s0, sendmsg(MSG_RTN_GET_DOORBELL)
	s_mov_b32 ttmp2, m0
	s_waitcnt lgkmcnt(0)
	s_and_b32 s0, s0, 0x3ff
	s_delay_alu instid0(SALU_CYCLE_1) | instskip(NEXT) | instid1(SALU_CYCLE_1)
	s_bitset1_b32 s0, 10
	s_mov_b32 m0, s0
	s_sendmsg sendmsg(MSG_INTERRUPT)
	s_mov_b32 m0, ttmp2
.LBB12_1478:                            ; =>This Inner Loop Header: Depth=1
	s_sethalt 5
	s_branch .LBB12_1478
.LBB12_1479:
	s_trap 2
	s_sendmsg_rtn_b32 s0, sendmsg(MSG_RTN_GET_DOORBELL)
	s_mov_b32 ttmp2, m0
	s_waitcnt lgkmcnt(0)
	s_and_b32 s0, s0, 0x3ff
	s_delay_alu instid0(SALU_CYCLE_1) | instskip(NEXT) | instid1(SALU_CYCLE_1)
	s_bitset1_b32 s0, 10
	s_mov_b32 m0, s0
	s_sendmsg sendmsg(MSG_INTERRUPT)
	s_mov_b32 m0, ttmp2
.LBB12_1480:                            ; =>This Inner Loop Header: Depth=1
	s_sethalt 5
	s_branch .LBB12_1480
.LBB12_1481:
	s_trap 2
	s_sendmsg_rtn_b32 s0, sendmsg(MSG_RTN_GET_DOORBELL)
	s_mov_b32 ttmp2, m0
	s_waitcnt lgkmcnt(0)
	s_and_b32 s0, s0, 0x3ff
	s_delay_alu instid0(SALU_CYCLE_1) | instskip(NEXT) | instid1(SALU_CYCLE_1)
	s_bitset1_b32 s0, 10
	s_mov_b32 m0, s0
	s_sendmsg sendmsg(MSG_INTERRUPT)
	s_mov_b32 m0, ttmp2
.LBB12_1482:                            ; =>This Inner Loop Header: Depth=1
	s_sethalt 5
	s_branch .LBB12_1482
.LBB12_1483:
	s_trap 2
	s_sendmsg_rtn_b32 s0, sendmsg(MSG_RTN_GET_DOORBELL)
	s_mov_b32 ttmp2, m0
	s_waitcnt lgkmcnt(0)
	s_and_b32 s0, s0, 0x3ff
	s_delay_alu instid0(SALU_CYCLE_1) | instskip(NEXT) | instid1(SALU_CYCLE_1)
	s_bitset1_b32 s0, 10
	s_mov_b32 m0, s0
	s_sendmsg sendmsg(MSG_INTERRUPT)
	s_mov_b32 m0, ttmp2
.LBB12_1484:                            ; =>This Inner Loop Header: Depth=1
	s_sethalt 5
	s_branch .LBB12_1484
.LBB12_1485:
	s_trap 2
	s_sendmsg_rtn_b32 s0, sendmsg(MSG_RTN_GET_DOORBELL)
	s_mov_b32 ttmp2, m0
	s_waitcnt lgkmcnt(0)
	s_and_b32 s0, s0, 0x3ff
	s_delay_alu instid0(SALU_CYCLE_1) | instskip(NEXT) | instid1(SALU_CYCLE_1)
	s_bitset1_b32 s0, 10
	s_mov_b32 m0, s0
	s_sendmsg sendmsg(MSG_INTERRUPT)
	s_mov_b32 m0, ttmp2
.LBB12_1486:                            ; =>This Inner Loop Header: Depth=1
	s_sethalt 5
	s_branch .LBB12_1486
.LBB12_1487:
	s_trap 2
	s_sendmsg_rtn_b32 s0, sendmsg(MSG_RTN_GET_DOORBELL)
	s_mov_b32 ttmp2, m0
	s_waitcnt lgkmcnt(0)
	s_and_b32 s0, s0, 0x3ff
	s_delay_alu instid0(SALU_CYCLE_1) | instskip(NEXT) | instid1(SALU_CYCLE_1)
	s_bitset1_b32 s0, 10
	s_mov_b32 m0, s0
	s_sendmsg sendmsg(MSG_INTERRUPT)
	s_mov_b32 m0, ttmp2
.LBB12_1488:                            ; =>This Inner Loop Header: Depth=1
	s_sethalt 5
	s_branch .LBB12_1488
.LBB12_1489:
	s_trap 2
	s_sendmsg_rtn_b32 s0, sendmsg(MSG_RTN_GET_DOORBELL)
	s_mov_b32 ttmp2, m0
	s_waitcnt lgkmcnt(0)
	s_and_b32 s0, s0, 0x3ff
	s_delay_alu instid0(SALU_CYCLE_1) | instskip(NEXT) | instid1(SALU_CYCLE_1)
	s_bitset1_b32 s0, 10
	s_mov_b32 m0, s0
	s_sendmsg sendmsg(MSG_INTERRUPT)
	s_mov_b32 m0, ttmp2
.LBB12_1490:                            ; =>This Inner Loop Header: Depth=1
	s_sethalt 5
	s_branch .LBB12_1490
.LBB12_1491:
	s_trap 2
	s_sendmsg_rtn_b32 s0, sendmsg(MSG_RTN_GET_DOORBELL)
	s_mov_b32 ttmp2, m0
	s_waitcnt lgkmcnt(0)
	s_and_b32 s0, s0, 0x3ff
	s_delay_alu instid0(SALU_CYCLE_1) | instskip(NEXT) | instid1(SALU_CYCLE_1)
	s_bitset1_b32 s0, 10
	s_mov_b32 m0, s0
	s_sendmsg sendmsg(MSG_INTERRUPT)
	s_mov_b32 m0, ttmp2
.LBB12_1492:                            ; =>This Inner Loop Header: Depth=1
	s_sethalt 5
	s_branch .LBB12_1492
.LBB12_1493:
	s_trap 2
	s_sendmsg_rtn_b32 s0, sendmsg(MSG_RTN_GET_DOORBELL)
	s_mov_b32 ttmp2, m0
	s_waitcnt lgkmcnt(0)
	s_and_b32 s0, s0, 0x3ff
	s_delay_alu instid0(SALU_CYCLE_1) | instskip(NEXT) | instid1(SALU_CYCLE_1)
	s_bitset1_b32 s0, 10
	s_mov_b32 m0, s0
	s_sendmsg sendmsg(MSG_INTERRUPT)
	s_mov_b32 m0, ttmp2
.LBB12_1494:                            ; =>This Inner Loop Header: Depth=1
	s_sethalt 5
	s_branch .LBB12_1494
.LBB12_1495:
	s_trap 2
	s_sendmsg_rtn_b32 s0, sendmsg(MSG_RTN_GET_DOORBELL)
	s_mov_b32 ttmp2, m0
	s_waitcnt lgkmcnt(0)
	s_and_b32 s0, s0, 0x3ff
	s_delay_alu instid0(SALU_CYCLE_1) | instskip(NEXT) | instid1(SALU_CYCLE_1)
	s_bitset1_b32 s0, 10
	s_mov_b32 m0, s0
	s_sendmsg sendmsg(MSG_INTERRUPT)
	s_mov_b32 m0, ttmp2
.LBB12_1496:                            ; =>This Inner Loop Header: Depth=1
	s_sethalt 5
	s_branch .LBB12_1496
.LBB12_1497:
	s_trap 2
	s_sendmsg_rtn_b32 s0, sendmsg(MSG_RTN_GET_DOORBELL)
	s_mov_b32 ttmp2, m0
	s_waitcnt lgkmcnt(0)
	s_and_b32 s0, s0, 0x3ff
	s_delay_alu instid0(SALU_CYCLE_1) | instskip(NEXT) | instid1(SALU_CYCLE_1)
	s_bitset1_b32 s0, 10
	s_mov_b32 m0, s0
	s_sendmsg sendmsg(MSG_INTERRUPT)
	s_mov_b32 m0, ttmp2
.LBB12_1498:                            ; =>This Inner Loop Header: Depth=1
	s_sethalt 5
	s_branch .LBB12_1498
.LBB12_1499:
	s_trap 2
	s_sendmsg_rtn_b32 s0, sendmsg(MSG_RTN_GET_DOORBELL)
	s_mov_b32 ttmp2, m0
	s_waitcnt lgkmcnt(0)
	s_and_b32 s0, s0, 0x3ff
	s_delay_alu instid0(SALU_CYCLE_1) | instskip(NEXT) | instid1(SALU_CYCLE_1)
	s_bitset1_b32 s0, 10
	s_mov_b32 m0, s0
	s_sendmsg sendmsg(MSG_INTERRUPT)
	s_mov_b32 m0, ttmp2
.LBB12_1500:                            ; =>This Inner Loop Header: Depth=1
	s_sethalt 5
	s_branch .LBB12_1500
.LBB12_1501:
	s_trap 2
	s_sendmsg_rtn_b32 s0, sendmsg(MSG_RTN_GET_DOORBELL)
	s_mov_b32 ttmp2, m0
	s_waitcnt lgkmcnt(0)
	s_and_b32 s0, s0, 0x3ff
	s_delay_alu instid0(SALU_CYCLE_1) | instskip(NEXT) | instid1(SALU_CYCLE_1)
	s_bitset1_b32 s0, 10
	s_mov_b32 m0, s0
	s_sendmsg sendmsg(MSG_INTERRUPT)
	s_mov_b32 m0, ttmp2
.LBB12_1502:                            ; =>This Inner Loop Header: Depth=1
	s_sethalt 5
	s_branch .LBB12_1502
.LBB12_1503:
	s_trap 2
	s_sendmsg_rtn_b32 s0, sendmsg(MSG_RTN_GET_DOORBELL)
	s_mov_b32 ttmp2, m0
	s_waitcnt lgkmcnt(0)
	s_and_b32 s0, s0, 0x3ff
	s_delay_alu instid0(SALU_CYCLE_1) | instskip(NEXT) | instid1(SALU_CYCLE_1)
	s_bitset1_b32 s0, 10
	s_mov_b32 m0, s0
	s_sendmsg sendmsg(MSG_INTERRUPT)
	s_mov_b32 m0, ttmp2
.LBB12_1504:                            ; =>This Inner Loop Header: Depth=1
	s_sethalt 5
	s_branch .LBB12_1504
.LBB12_1505:
	s_trap 2
	s_sendmsg_rtn_b32 s0, sendmsg(MSG_RTN_GET_DOORBELL)
	s_mov_b32 ttmp2, m0
	s_waitcnt lgkmcnt(0)
	s_and_b32 s0, s0, 0x3ff
	s_delay_alu instid0(SALU_CYCLE_1) | instskip(NEXT) | instid1(SALU_CYCLE_1)
	s_bitset1_b32 s0, 10
	s_mov_b32 m0, s0
	s_sendmsg sendmsg(MSG_INTERRUPT)
	s_mov_b32 m0, ttmp2
.LBB12_1506:                            ; =>This Inner Loop Header: Depth=1
	s_sethalt 5
	s_branch .LBB12_1506
.LBB12_1507:
	s_trap 2
	s_sendmsg_rtn_b32 s0, sendmsg(MSG_RTN_GET_DOORBELL)
	s_mov_b32 ttmp2, m0
	s_waitcnt lgkmcnt(0)
	s_and_b32 s0, s0, 0x3ff
	s_delay_alu instid0(SALU_CYCLE_1) | instskip(NEXT) | instid1(SALU_CYCLE_1)
	s_bitset1_b32 s0, 10
	s_mov_b32 m0, s0
	s_sendmsg sendmsg(MSG_INTERRUPT)
	s_mov_b32 m0, ttmp2
.LBB12_1508:                            ; =>This Inner Loop Header: Depth=1
	s_sethalt 5
	s_branch .LBB12_1508
.LBB12_1509:
	s_trap 2
	s_sendmsg_rtn_b32 s0, sendmsg(MSG_RTN_GET_DOORBELL)
	s_mov_b32 ttmp2, m0
	s_waitcnt lgkmcnt(0)
	s_and_b32 s0, s0, 0x3ff
	s_delay_alu instid0(SALU_CYCLE_1) | instskip(NEXT) | instid1(SALU_CYCLE_1)
	s_bitset1_b32 s0, 10
	s_mov_b32 m0, s0
	s_sendmsg sendmsg(MSG_INTERRUPT)
	s_mov_b32 m0, ttmp2
.LBB12_1510:                            ; =>This Inner Loop Header: Depth=1
	s_sethalt 5
	s_branch .LBB12_1510
.LBB12_1511:
	s_trap 2
	s_sendmsg_rtn_b32 s0, sendmsg(MSG_RTN_GET_DOORBELL)
	s_mov_b32 ttmp2, m0
	s_waitcnt lgkmcnt(0)
	s_and_b32 s0, s0, 0x3ff
	s_delay_alu instid0(SALU_CYCLE_1) | instskip(NEXT) | instid1(SALU_CYCLE_1)
	s_bitset1_b32 s0, 10
	s_mov_b32 m0, s0
	s_sendmsg sendmsg(MSG_INTERRUPT)
	s_mov_b32 m0, ttmp2
.LBB12_1512:                            ; =>This Inner Loop Header: Depth=1
	s_sethalt 5
	s_branch .LBB12_1512
.LBB12_1513:
	s_trap 2
	s_sendmsg_rtn_b32 s0, sendmsg(MSG_RTN_GET_DOORBELL)
	s_mov_b32 ttmp2, m0
	s_waitcnt lgkmcnt(0)
	s_and_b32 s0, s0, 0x3ff
	s_delay_alu instid0(SALU_CYCLE_1) | instskip(NEXT) | instid1(SALU_CYCLE_1)
	s_bitset1_b32 s0, 10
	s_mov_b32 m0, s0
	s_sendmsg sendmsg(MSG_INTERRUPT)
	s_mov_b32 m0, ttmp2
.LBB12_1514:                            ; =>This Inner Loop Header: Depth=1
	s_sethalt 5
	s_branch .LBB12_1514
.LBB12_1515:
	s_trap 2
	s_sendmsg_rtn_b32 s0, sendmsg(MSG_RTN_GET_DOORBELL)
	s_mov_b32 ttmp2, m0
	s_waitcnt lgkmcnt(0)
	s_and_b32 s0, s0, 0x3ff
	s_delay_alu instid0(SALU_CYCLE_1) | instskip(NEXT) | instid1(SALU_CYCLE_1)
	s_bitset1_b32 s0, 10
	s_mov_b32 m0, s0
	s_sendmsg sendmsg(MSG_INTERRUPT)
	s_mov_b32 m0, ttmp2
.LBB12_1516:                            ; =>This Inner Loop Header: Depth=1
	s_sethalt 5
	s_branch .LBB12_1516
.LBB12_1517:
	s_trap 2
	s_sendmsg_rtn_b32 s0, sendmsg(MSG_RTN_GET_DOORBELL)
	s_mov_b32 ttmp2, m0
	s_waitcnt lgkmcnt(0)
	s_and_b32 s0, s0, 0x3ff
	s_delay_alu instid0(SALU_CYCLE_1) | instskip(NEXT) | instid1(SALU_CYCLE_1)
	s_bitset1_b32 s0, 10
	s_mov_b32 m0, s0
	s_sendmsg sendmsg(MSG_INTERRUPT)
	s_mov_b32 m0, ttmp2
.LBB12_1518:                            ; =>This Inner Loop Header: Depth=1
	s_sethalt 5
	s_branch .LBB12_1518
.LBB12_1519:
	s_trap 2
	s_sendmsg_rtn_b32 s0, sendmsg(MSG_RTN_GET_DOORBELL)
	s_mov_b32 ttmp2, m0
	s_waitcnt lgkmcnt(0)
	s_and_b32 s0, s0, 0x3ff
	s_delay_alu instid0(SALU_CYCLE_1) | instskip(NEXT) | instid1(SALU_CYCLE_1)
	s_bitset1_b32 s0, 10
	s_mov_b32 m0, s0
	s_sendmsg sendmsg(MSG_INTERRUPT)
	s_mov_b32 m0, ttmp2
.LBB12_1520:                            ; =>This Inner Loop Header: Depth=1
	s_sethalt 5
	s_branch .LBB12_1520
.LBB12_1521:
	s_trap 2
	s_sendmsg_rtn_b32 s0, sendmsg(MSG_RTN_GET_DOORBELL)
	s_mov_b32 ttmp2, m0
	s_waitcnt lgkmcnt(0)
	s_and_b32 s0, s0, 0x3ff
	s_delay_alu instid0(SALU_CYCLE_1) | instskip(NEXT) | instid1(SALU_CYCLE_1)
	s_bitset1_b32 s0, 10
	s_mov_b32 m0, s0
	s_sendmsg sendmsg(MSG_INTERRUPT)
	s_mov_b32 m0, ttmp2
.LBB12_1522:                            ; =>This Inner Loop Header: Depth=1
	s_sethalt 5
	s_branch .LBB12_1522
.LBB12_1523:
	s_trap 2
	s_sendmsg_rtn_b32 s0, sendmsg(MSG_RTN_GET_DOORBELL)
	s_mov_b32 ttmp2, m0
	s_waitcnt lgkmcnt(0)
	s_and_b32 s0, s0, 0x3ff
	s_delay_alu instid0(SALU_CYCLE_1) | instskip(NEXT) | instid1(SALU_CYCLE_1)
	s_bitset1_b32 s0, 10
	s_mov_b32 m0, s0
	s_sendmsg sendmsg(MSG_INTERRUPT)
	s_mov_b32 m0, ttmp2
.LBB12_1524:                            ; =>This Inner Loop Header: Depth=1
	s_sethalt 5
	s_branch .LBB12_1524
.LBB12_1525:
	s_trap 2
	s_sendmsg_rtn_b32 s0, sendmsg(MSG_RTN_GET_DOORBELL)
	s_mov_b32 ttmp2, m0
	s_waitcnt lgkmcnt(0)
	s_and_b32 s0, s0, 0x3ff
	s_delay_alu instid0(SALU_CYCLE_1) | instskip(NEXT) | instid1(SALU_CYCLE_1)
	s_bitset1_b32 s0, 10
	s_mov_b32 m0, s0
	s_sendmsg sendmsg(MSG_INTERRUPT)
	s_mov_b32 m0, ttmp2
.LBB12_1526:                            ; =>This Inner Loop Header: Depth=1
	s_sethalt 5
	s_branch .LBB12_1526
.LBB12_1527:
	s_trap 2
	s_sendmsg_rtn_b32 s0, sendmsg(MSG_RTN_GET_DOORBELL)
	s_mov_b32 ttmp2, m0
	s_waitcnt lgkmcnt(0)
	s_and_b32 s0, s0, 0x3ff
	s_delay_alu instid0(SALU_CYCLE_1) | instskip(NEXT) | instid1(SALU_CYCLE_1)
	s_bitset1_b32 s0, 10
	s_mov_b32 m0, s0
	s_sendmsg sendmsg(MSG_INTERRUPT)
	s_mov_b32 m0, ttmp2
.LBB12_1528:                            ; =>This Inner Loop Header: Depth=1
	s_sethalt 5
	s_branch .LBB12_1528
.LBB12_1529:
	s_trap 2
	s_sendmsg_rtn_b32 s0, sendmsg(MSG_RTN_GET_DOORBELL)
	s_mov_b32 ttmp2, m0
	s_waitcnt lgkmcnt(0)
	s_and_b32 s0, s0, 0x3ff
	s_delay_alu instid0(SALU_CYCLE_1) | instskip(NEXT) | instid1(SALU_CYCLE_1)
	s_bitset1_b32 s0, 10
	s_mov_b32 m0, s0
	s_sendmsg sendmsg(MSG_INTERRUPT)
	s_mov_b32 m0, ttmp2
.LBB12_1530:                            ; =>This Inner Loop Header: Depth=1
	s_sethalt 5
	s_branch .LBB12_1530
.LBB12_1531:
	s_trap 2
	s_sendmsg_rtn_b32 s0, sendmsg(MSG_RTN_GET_DOORBELL)
	s_mov_b32 ttmp2, m0
	s_waitcnt lgkmcnt(0)
	s_and_b32 s0, s0, 0x3ff
	s_delay_alu instid0(SALU_CYCLE_1) | instskip(NEXT) | instid1(SALU_CYCLE_1)
	s_bitset1_b32 s0, 10
	s_mov_b32 m0, s0
	s_sendmsg sendmsg(MSG_INTERRUPT)
	s_mov_b32 m0, ttmp2
.LBB12_1532:                            ; =>This Inner Loop Header: Depth=1
	s_sethalt 5
	s_branch .LBB12_1532
.LBB12_1533:
	s_trap 2
	s_sendmsg_rtn_b32 s0, sendmsg(MSG_RTN_GET_DOORBELL)
	s_mov_b32 ttmp2, m0
	s_waitcnt lgkmcnt(0)
	s_and_b32 s0, s0, 0x3ff
	s_delay_alu instid0(SALU_CYCLE_1) | instskip(NEXT) | instid1(SALU_CYCLE_1)
	s_bitset1_b32 s0, 10
	s_mov_b32 m0, s0
	s_sendmsg sendmsg(MSG_INTERRUPT)
	s_mov_b32 m0, ttmp2
.LBB12_1534:                            ; =>This Inner Loop Header: Depth=1
	s_sethalt 5
	s_branch .LBB12_1534
.LBB12_1535:
	s_trap 2
	s_sendmsg_rtn_b32 s0, sendmsg(MSG_RTN_GET_DOORBELL)
	s_mov_b32 ttmp2, m0
	s_waitcnt lgkmcnt(0)
	s_and_b32 s0, s0, 0x3ff
	s_delay_alu instid0(SALU_CYCLE_1) | instskip(NEXT) | instid1(SALU_CYCLE_1)
	s_bitset1_b32 s0, 10
	s_mov_b32 m0, s0
	s_sendmsg sendmsg(MSG_INTERRUPT)
	s_mov_b32 m0, ttmp2
.LBB12_1536:                            ; =>This Inner Loop Header: Depth=1
	s_sethalt 5
	s_branch .LBB12_1536
.LBB12_1537:
	s_trap 2
	s_sendmsg_rtn_b32 s0, sendmsg(MSG_RTN_GET_DOORBELL)
	s_mov_b32 ttmp2, m0
	s_waitcnt lgkmcnt(0)
	s_and_b32 s0, s0, 0x3ff
	s_delay_alu instid0(SALU_CYCLE_1) | instskip(NEXT) | instid1(SALU_CYCLE_1)
	s_bitset1_b32 s0, 10
	s_mov_b32 m0, s0
	s_sendmsg sendmsg(MSG_INTERRUPT)
	s_mov_b32 m0, ttmp2
.LBB12_1538:                            ; =>This Inner Loop Header: Depth=1
	s_sethalt 5
	s_branch .LBB12_1538
.LBB12_1539:
	s_trap 2
	s_sendmsg_rtn_b32 s0, sendmsg(MSG_RTN_GET_DOORBELL)
	s_mov_b32 ttmp2, m0
	s_waitcnt lgkmcnt(0)
	s_and_b32 s0, s0, 0x3ff
	s_delay_alu instid0(SALU_CYCLE_1) | instskip(NEXT) | instid1(SALU_CYCLE_1)
	s_bitset1_b32 s0, 10
	s_mov_b32 m0, s0
	s_sendmsg sendmsg(MSG_INTERRUPT)
	s_mov_b32 m0, ttmp2
.LBB12_1540:                            ; =>This Inner Loop Header: Depth=1
	s_sethalt 5
	s_branch .LBB12_1540
.LBB12_1541:
	s_trap 2
	s_sendmsg_rtn_b32 s0, sendmsg(MSG_RTN_GET_DOORBELL)
	s_mov_b32 ttmp2, m0
	s_waitcnt lgkmcnt(0)
	s_and_b32 s0, s0, 0x3ff
	s_delay_alu instid0(SALU_CYCLE_1) | instskip(NEXT) | instid1(SALU_CYCLE_1)
	s_bitset1_b32 s0, 10
	s_mov_b32 m0, s0
	s_sendmsg sendmsg(MSG_INTERRUPT)
	s_mov_b32 m0, ttmp2
.LBB12_1542:                            ; =>This Inner Loop Header: Depth=1
	s_sethalt 5
	s_branch .LBB12_1542
.LBB12_1543:
	s_trap 2
	s_sendmsg_rtn_b32 s0, sendmsg(MSG_RTN_GET_DOORBELL)
	s_mov_b32 ttmp2, m0
	s_waitcnt lgkmcnt(0)
	s_and_b32 s0, s0, 0x3ff
	s_delay_alu instid0(SALU_CYCLE_1) | instskip(NEXT) | instid1(SALU_CYCLE_1)
	s_bitset1_b32 s0, 10
	s_mov_b32 m0, s0
	s_sendmsg sendmsg(MSG_INTERRUPT)
	s_mov_b32 m0, ttmp2
.LBB12_1544:                            ; =>This Inner Loop Header: Depth=1
	s_sethalt 5
	s_branch .LBB12_1544
.LBB12_1545:
	s_trap 2
	s_sendmsg_rtn_b32 s0, sendmsg(MSG_RTN_GET_DOORBELL)
	s_mov_b32 ttmp2, m0
	s_waitcnt lgkmcnt(0)
	s_and_b32 s0, s0, 0x3ff
	s_delay_alu instid0(SALU_CYCLE_1) | instskip(NEXT) | instid1(SALU_CYCLE_1)
	s_bitset1_b32 s0, 10
	s_mov_b32 m0, s0
	s_sendmsg sendmsg(MSG_INTERRUPT)
	s_mov_b32 m0, ttmp2
.LBB12_1546:                            ; =>This Inner Loop Header: Depth=1
	s_sethalt 5
	s_branch .LBB12_1546
.LBB12_1547:
	s_trap 2
	s_sendmsg_rtn_b32 s0, sendmsg(MSG_RTN_GET_DOORBELL)
	s_mov_b32 ttmp2, m0
	s_waitcnt lgkmcnt(0)
	s_and_b32 s0, s0, 0x3ff
	s_delay_alu instid0(SALU_CYCLE_1) | instskip(NEXT) | instid1(SALU_CYCLE_1)
	s_bitset1_b32 s0, 10
	s_mov_b32 m0, s0
	s_sendmsg sendmsg(MSG_INTERRUPT)
	s_mov_b32 m0, ttmp2
.LBB12_1548:                            ; =>This Inner Loop Header: Depth=1
	s_sethalt 5
	s_branch .LBB12_1548
.LBB12_1549:
	s_trap 2
	s_sendmsg_rtn_b32 s0, sendmsg(MSG_RTN_GET_DOORBELL)
	s_mov_b32 ttmp2, m0
	s_waitcnt lgkmcnt(0)
	s_and_b32 s0, s0, 0x3ff
	s_delay_alu instid0(SALU_CYCLE_1) | instskip(NEXT) | instid1(SALU_CYCLE_1)
	s_bitset1_b32 s0, 10
	s_mov_b32 m0, s0
	s_sendmsg sendmsg(MSG_INTERRUPT)
	s_mov_b32 m0, ttmp2
.LBB12_1550:                            ; =>This Inner Loop Header: Depth=1
	s_sethalt 5
	s_branch .LBB12_1550
.LBB12_1551:
	s_trap 2
	s_sendmsg_rtn_b32 s0, sendmsg(MSG_RTN_GET_DOORBELL)
	s_mov_b32 ttmp2, m0
	s_waitcnt lgkmcnt(0)
	s_and_b32 s0, s0, 0x3ff
	s_delay_alu instid0(SALU_CYCLE_1) | instskip(NEXT) | instid1(SALU_CYCLE_1)
	s_bitset1_b32 s0, 10
	s_mov_b32 m0, s0
	s_sendmsg sendmsg(MSG_INTERRUPT)
	s_mov_b32 m0, ttmp2
.LBB12_1552:                            ; =>This Inner Loop Header: Depth=1
	s_sethalt 5
	s_branch .LBB12_1552
.LBB12_1553:
	s_trap 2
	s_sendmsg_rtn_b32 s0, sendmsg(MSG_RTN_GET_DOORBELL)
	s_mov_b32 ttmp2, m0
	s_waitcnt lgkmcnt(0)
	s_and_b32 s0, s0, 0x3ff
	s_delay_alu instid0(SALU_CYCLE_1) | instskip(NEXT) | instid1(SALU_CYCLE_1)
	s_bitset1_b32 s0, 10
	s_mov_b32 m0, s0
	s_sendmsg sendmsg(MSG_INTERRUPT)
	s_mov_b32 m0, ttmp2
.LBB12_1554:                            ; =>This Inner Loop Header: Depth=1
	s_sethalt 5
	s_branch .LBB12_1554
.LBB12_1555:
	s_trap 2
	s_sendmsg_rtn_b32 s0, sendmsg(MSG_RTN_GET_DOORBELL)
	s_mov_b32 ttmp2, m0
	s_waitcnt lgkmcnt(0)
	s_and_b32 s0, s0, 0x3ff
	s_delay_alu instid0(SALU_CYCLE_1) | instskip(NEXT) | instid1(SALU_CYCLE_1)
	s_bitset1_b32 s0, 10
	s_mov_b32 m0, s0
	s_sendmsg sendmsg(MSG_INTERRUPT)
	s_mov_b32 m0, ttmp2
.LBB12_1556:                            ; =>This Inner Loop Header: Depth=1
	s_sethalt 5
	s_branch .LBB12_1556
.LBB12_1557:
	s_trap 2
	s_sendmsg_rtn_b32 s0, sendmsg(MSG_RTN_GET_DOORBELL)
	s_mov_b32 ttmp2, m0
	s_waitcnt lgkmcnt(0)
	s_and_b32 s0, s0, 0x3ff
	s_delay_alu instid0(SALU_CYCLE_1) | instskip(NEXT) | instid1(SALU_CYCLE_1)
	s_bitset1_b32 s0, 10
	s_mov_b32 m0, s0
	s_sendmsg sendmsg(MSG_INTERRUPT)
	s_mov_b32 m0, ttmp2
.LBB12_1558:                            ; =>This Inner Loop Header: Depth=1
	s_sethalt 5
	s_branch .LBB12_1558
.LBB12_1559:
	s_trap 2
	s_sendmsg_rtn_b32 s0, sendmsg(MSG_RTN_GET_DOORBELL)
	s_mov_b32 ttmp2, m0
	s_waitcnt lgkmcnt(0)
	s_and_b32 s0, s0, 0x3ff
	s_delay_alu instid0(SALU_CYCLE_1) | instskip(NEXT) | instid1(SALU_CYCLE_1)
	s_bitset1_b32 s0, 10
	s_mov_b32 m0, s0
	s_sendmsg sendmsg(MSG_INTERRUPT)
	s_mov_b32 m0, ttmp2
.LBB12_1560:                            ; =>This Inner Loop Header: Depth=1
	s_sethalt 5
	s_branch .LBB12_1560
.LBB12_1561:
	s_trap 2
	s_sendmsg_rtn_b32 s0, sendmsg(MSG_RTN_GET_DOORBELL)
	s_mov_b32 ttmp2, m0
	s_waitcnt lgkmcnt(0)
	s_and_b32 s0, s0, 0x3ff
	s_delay_alu instid0(SALU_CYCLE_1) | instskip(NEXT) | instid1(SALU_CYCLE_1)
	s_bitset1_b32 s0, 10
	s_mov_b32 m0, s0
	s_sendmsg sendmsg(MSG_INTERRUPT)
	s_mov_b32 m0, ttmp2
.LBB12_1562:                            ; =>This Inner Loop Header: Depth=1
	s_sethalt 5
	s_branch .LBB12_1562
.LBB12_1563:
	s_trap 2
	s_sendmsg_rtn_b32 s0, sendmsg(MSG_RTN_GET_DOORBELL)
	s_mov_b32 ttmp2, m0
	s_waitcnt lgkmcnt(0)
	s_and_b32 s0, s0, 0x3ff
	s_delay_alu instid0(SALU_CYCLE_1) | instskip(NEXT) | instid1(SALU_CYCLE_1)
	s_bitset1_b32 s0, 10
	s_mov_b32 m0, s0
	s_sendmsg sendmsg(MSG_INTERRUPT)
	s_mov_b32 m0, ttmp2
.LBB12_1564:                            ; =>This Inner Loop Header: Depth=1
	s_sethalt 5
	s_branch .LBB12_1564
.LBB12_1565:
	s_trap 2
	s_sendmsg_rtn_b32 s0, sendmsg(MSG_RTN_GET_DOORBELL)
	s_mov_b32 ttmp2, m0
	s_waitcnt lgkmcnt(0)
	s_and_b32 s0, s0, 0x3ff
	s_delay_alu instid0(SALU_CYCLE_1) | instskip(NEXT) | instid1(SALU_CYCLE_1)
	s_bitset1_b32 s0, 10
	s_mov_b32 m0, s0
	s_sendmsg sendmsg(MSG_INTERRUPT)
	s_mov_b32 m0, ttmp2
.LBB12_1566:                            ; =>This Inner Loop Header: Depth=1
	s_sethalt 5
	s_branch .LBB12_1566
.LBB12_1567:
	s_trap 2
	s_sendmsg_rtn_b32 s0, sendmsg(MSG_RTN_GET_DOORBELL)
	s_mov_b32 ttmp2, m0
	s_waitcnt lgkmcnt(0)
	s_and_b32 s0, s0, 0x3ff
	s_delay_alu instid0(SALU_CYCLE_1) | instskip(NEXT) | instid1(SALU_CYCLE_1)
	s_bitset1_b32 s0, 10
	s_mov_b32 m0, s0
	s_sendmsg sendmsg(MSG_INTERRUPT)
	s_mov_b32 m0, ttmp2
.LBB12_1568:                            ; =>This Inner Loop Header: Depth=1
	s_sethalt 5
	s_branch .LBB12_1568
.LBB12_1569:
	s_trap 2
	s_sendmsg_rtn_b32 s0, sendmsg(MSG_RTN_GET_DOORBELL)
	s_mov_b32 ttmp2, m0
	s_waitcnt lgkmcnt(0)
	s_and_b32 s0, s0, 0x3ff
	s_delay_alu instid0(SALU_CYCLE_1) | instskip(NEXT) | instid1(SALU_CYCLE_1)
	s_bitset1_b32 s0, 10
	s_mov_b32 m0, s0
	s_sendmsg sendmsg(MSG_INTERRUPT)
	s_mov_b32 m0, ttmp2
.LBB12_1570:                            ; =>This Inner Loop Header: Depth=1
	s_sethalt 5
	s_branch .LBB12_1570
.LBB12_1571:
	s_trap 2
	s_sendmsg_rtn_b32 s0, sendmsg(MSG_RTN_GET_DOORBELL)
	s_mov_b32 ttmp2, m0
	s_waitcnt lgkmcnt(0)
	s_and_b32 s0, s0, 0x3ff
	s_delay_alu instid0(SALU_CYCLE_1) | instskip(NEXT) | instid1(SALU_CYCLE_1)
	s_bitset1_b32 s0, 10
	s_mov_b32 m0, s0
	s_sendmsg sendmsg(MSG_INTERRUPT)
	s_mov_b32 m0, ttmp2
.LBB12_1572:                            ; =>This Inner Loop Header: Depth=1
	s_sethalt 5
	s_branch .LBB12_1572
.LBB12_1573:
	s_trap 2
	s_sendmsg_rtn_b32 s0, sendmsg(MSG_RTN_GET_DOORBELL)
	s_mov_b32 ttmp2, m0
	s_waitcnt lgkmcnt(0)
	s_and_b32 s0, s0, 0x3ff
	s_delay_alu instid0(SALU_CYCLE_1) | instskip(NEXT) | instid1(SALU_CYCLE_1)
	s_bitset1_b32 s0, 10
	s_mov_b32 m0, s0
	s_sendmsg sendmsg(MSG_INTERRUPT)
	s_mov_b32 m0, ttmp2
.LBB12_1574:                            ; =>This Inner Loop Header: Depth=1
	s_sethalt 5
	s_branch .LBB12_1574
.LBB12_1575:
	s_trap 2
	s_sendmsg_rtn_b32 s0, sendmsg(MSG_RTN_GET_DOORBELL)
	s_mov_b32 ttmp2, m0
	s_waitcnt lgkmcnt(0)
	s_and_b32 s0, s0, 0x3ff
	s_delay_alu instid0(SALU_CYCLE_1) | instskip(NEXT) | instid1(SALU_CYCLE_1)
	s_bitset1_b32 s0, 10
	s_mov_b32 m0, s0
	s_sendmsg sendmsg(MSG_INTERRUPT)
	s_mov_b32 m0, ttmp2
.LBB12_1576:                            ; =>This Inner Loop Header: Depth=1
	s_sethalt 5
	s_branch .LBB12_1576
.LBB12_1577:
	s_trap 2
	s_sendmsg_rtn_b32 s0, sendmsg(MSG_RTN_GET_DOORBELL)
	s_mov_b32 ttmp2, m0
	s_waitcnt lgkmcnt(0)
	s_and_b32 s0, s0, 0x3ff
	s_delay_alu instid0(SALU_CYCLE_1) | instskip(NEXT) | instid1(SALU_CYCLE_1)
	s_bitset1_b32 s0, 10
	s_mov_b32 m0, s0
	s_sendmsg sendmsg(MSG_INTERRUPT)
	s_mov_b32 m0, ttmp2
.LBB12_1578:                            ; =>This Inner Loop Header: Depth=1
	s_sethalt 5
	s_branch .LBB12_1578
.LBB12_1579:
	s_trap 2
	s_sendmsg_rtn_b32 s0, sendmsg(MSG_RTN_GET_DOORBELL)
	s_mov_b32 ttmp2, m0
	s_waitcnt lgkmcnt(0)
	s_and_b32 s0, s0, 0x3ff
	s_delay_alu instid0(SALU_CYCLE_1) | instskip(NEXT) | instid1(SALU_CYCLE_1)
	s_bitset1_b32 s0, 10
	s_mov_b32 m0, s0
	s_sendmsg sendmsg(MSG_INTERRUPT)
	s_mov_b32 m0, ttmp2
.LBB12_1580:                            ; =>This Inner Loop Header: Depth=1
	s_sethalt 5
	s_branch .LBB12_1580
.LBB12_1581:
	s_trap 2
	s_sendmsg_rtn_b32 s0, sendmsg(MSG_RTN_GET_DOORBELL)
	s_mov_b32 ttmp2, m0
	s_waitcnt lgkmcnt(0)
	s_and_b32 s0, s0, 0x3ff
	s_delay_alu instid0(SALU_CYCLE_1) | instskip(NEXT) | instid1(SALU_CYCLE_1)
	s_bitset1_b32 s0, 10
	s_mov_b32 m0, s0
	s_sendmsg sendmsg(MSG_INTERRUPT)
	s_mov_b32 m0, ttmp2
.LBB12_1582:                            ; =>This Inner Loop Header: Depth=1
	s_sethalt 5
	s_branch .LBB12_1582
.LBB12_1583:
	s_trap 2
	s_sendmsg_rtn_b32 s0, sendmsg(MSG_RTN_GET_DOORBELL)
	s_mov_b32 ttmp2, m0
	s_waitcnt lgkmcnt(0)
	s_and_b32 s0, s0, 0x3ff
	s_delay_alu instid0(SALU_CYCLE_1) | instskip(NEXT) | instid1(SALU_CYCLE_1)
	s_bitset1_b32 s0, 10
	s_mov_b32 m0, s0
	s_sendmsg sendmsg(MSG_INTERRUPT)
	s_mov_b32 m0, ttmp2
.LBB12_1584:                            ; =>This Inner Loop Header: Depth=1
	s_sethalt 5
	s_branch .LBB12_1584
.LBB12_1585:
	s_trap 2
	s_sendmsg_rtn_b32 s0, sendmsg(MSG_RTN_GET_DOORBELL)
	s_mov_b32 ttmp2, m0
	s_waitcnt lgkmcnt(0)
	s_and_b32 s0, s0, 0x3ff
	s_delay_alu instid0(SALU_CYCLE_1) | instskip(NEXT) | instid1(SALU_CYCLE_1)
	s_bitset1_b32 s0, 10
	s_mov_b32 m0, s0
	s_sendmsg sendmsg(MSG_INTERRUPT)
	s_mov_b32 m0, ttmp2
.LBB12_1586:                            ; =>This Inner Loop Header: Depth=1
	s_sethalt 5
	s_branch .LBB12_1586
.LBB12_1587:
	s_trap 2
	s_sendmsg_rtn_b32 s0, sendmsg(MSG_RTN_GET_DOORBELL)
	s_mov_b32 ttmp2, m0
	s_waitcnt lgkmcnt(0)
	s_and_b32 s0, s0, 0x3ff
	s_delay_alu instid0(SALU_CYCLE_1) | instskip(NEXT) | instid1(SALU_CYCLE_1)
	s_bitset1_b32 s0, 10
	s_mov_b32 m0, s0
	s_sendmsg sendmsg(MSG_INTERRUPT)
	s_mov_b32 m0, ttmp2
.LBB12_1588:                            ; =>This Inner Loop Header: Depth=1
	s_sethalt 5
	s_branch .LBB12_1588
.LBB12_1589:
	s_trap 2
	s_sendmsg_rtn_b32 s0, sendmsg(MSG_RTN_GET_DOORBELL)
	s_mov_b32 ttmp2, m0
	s_waitcnt lgkmcnt(0)
	s_and_b32 s0, s0, 0x3ff
	s_delay_alu instid0(SALU_CYCLE_1) | instskip(NEXT) | instid1(SALU_CYCLE_1)
	s_bitset1_b32 s0, 10
	s_mov_b32 m0, s0
	s_sendmsg sendmsg(MSG_INTERRUPT)
	s_mov_b32 m0, ttmp2
.LBB12_1590:                            ; =>This Inner Loop Header: Depth=1
	s_sethalt 5
	s_branch .LBB12_1590
.Lfunc_end12:
	.size	_ZN12_GLOBAL__N_17runRingIa7FuncSumIaE11ProtoSimpleILi1ELi1ELi0ELi4ELi0ELi0EELi0ELi4ELi0EEEviiP15ncclDevWorkColl, .Lfunc_end12-_ZN12_GLOBAL__N_17runRingIa7FuncSumIaE11ProtoSimpleILi1ELi1ELi0ELi4ELi0ELi0EELi0ELi4ELi0EEEviiP15ncclDevWorkColl
                                        ; -- End function
	.section	.AMDGPU.csdata,"",@progbits
; Function info:
; codeLenInByte = 50236
; NumSgprs: 43
; NumVgprs: 184
; ScratchSize: 176
; MemoryBound: 1
	.text
	.p2align	2                               ; -- Begin function _Z46ncclDevFunc_Broadcast_RING_SIMPLE_Sum_i8_0_0_4v
	.type	_Z46ncclDevFunc_Broadcast_RING_SIMPLE_Sum_i8_0_0_4v,@function
_Z46ncclDevFunc_Broadcast_RING_SIMPLE_Sum_i8_0_0_4v: ; @_Z46ncclDevFunc_Broadcast_RING_SIMPLE_Sum_i8_0_0_4v
; %bb.0:
	s_waitcnt vmcnt(0) expcnt(0) lgkmcnt(0)
	s_mov_b32 s0, s33
	s_mov_b32 s33, s32
	s_or_saveexec_b32 s1, -1
	scratch_store_b32 off, v42, s33 offset:16 ; 4-byte Folded Spill
	s_mov_b32 exec_lo, s1
	v_writelane_b32 v42, s0, 15
	s_add_i32 s32, s32, 32
	s_clause 0x3
	scratch_store_b32 off, v40, s33 offset:12
	; meta instruction
	scratch_store_b32 off, v41, s33 offset:8
	; meta instruction
	;; [unrolled: 2-line block ×3, first 2 shown]
	scratch_store_b32 off, v89, s33
	v_writelane_b32 v42, s34, 0
	v_writelane_b32 v42, s35, 1
	;; [unrolled: 1-line block ×15, first 2 shown]
	s_cbranch_execnz .LBB13_13
; %bb.1:
	ds_load_b32 v0, v0
	s_waitcnt lgkmcnt(0)
	v_cmp_gt_i32_e32 vcc_lo, 1, v0
	s_cbranch_vccnz .LBB13_12
; %bb.2:
	v_and_b32_e32 v40, 0x3ff, v31
	s_mov_b32 s46, 0
	s_mov_b64 s[44:45], src_shared_base
.LBB13_3:                               ; =>This Inner Loop Header: Depth=1
	s_cbranch_execnz .LBB13_15
; %bb.4:                                ;   in Loop: Header=BB13_3 Depth=1
	ds_load_b32 v0, v0
	s_cmp_eq_u32 s46, 0
	s_cbranch_scc1 .LBB13_8
; %bb.5:                                ;   in Loop: Header=BB13_3 Depth=1
	s_cbranch_execnz .LBB13_19
; %bb.6:                                ;   in Loop: Header=BB13_3 Depth=1
	s_waitcnt lgkmcnt(0)
	ds_load_b32 v1, v0
	s_waitcnt lgkmcnt(0)
	v_xor_b32_e32 v1, v1, v0
	s_delay_alu instid0(VALU_DEP_1) | instskip(NEXT) | instid1(VALU_DEP_1)
	v_and_b32_e32 v1, 0xff0000, v1
	v_cmp_eq_u32_e32 vcc_lo, 0, v1
	s_cbranch_vccnz .LBB13_8
; %bb.7:                                ;   in Loop: Header=BB13_3 Depth=1
	s_waitcnt_vscnt null, 0x0
	s_barrier
	buffer_gl0_inv
	ds_load_b32 v0, v0
.LBB13_8:                               ;   in Loop: Header=BB13_3 Depth=1
	s_waitcnt lgkmcnt(0)
	v_lshrrev_b32_e32 v0, 11, v0
	s_mov_b32 s44, exec_lo
	s_delay_alu instid0(VALU_DEP_1) | instskip(NEXT) | instid1(VALU_DEP_1)
	v_and_b32_e32 v1, 0x1fe0, v0
	v_cmpx_lt_u32_e64 v40, v1
	s_cbranch_execz .LBB13_10
; %bb.9:                                ;   in Loop: Header=BB13_3 Depth=1
	v_dual_mov_b32 v41, v31 :: v_dual_mov_b32 v0, v40
	v_mov_b32_e32 v3, s45
	s_getpc_b64 s[0:1]
	s_add_u32 s0, s0, _ZN12_GLOBAL__N_17runRingIa7FuncSumIaE11ProtoSimpleILi1ELi1ELi0ELi4ELi0ELi0EELi0ELi4ELi0EEEviiP15ncclDevWorkColl@rel32@lo+4
	s_addc_u32 s1, s1, _ZN12_GLOBAL__N_17runRingIa7FuncSumIaE11ProtoSimpleILi1ELi1ELi0ELi4ELi0ELi0EELi0ELi4ELi0EEEviiP15ncclDevWorkColl@rel32@hi+12
	s_mov_b64 s[42:43], s[8:9]
	s_mov_b32 s41, s12
	s_swappc_b64 s[30:31], s[0:1]
	v_mov_b32_e32 v31, v41
	s_mov_b32 s12, s41
	s_mov_b64 s[8:9], s[42:43]
.LBB13_10:                              ;   in Loop: Header=BB13_3 Depth=1
	s_or_b32 exec_lo, exec_lo, s44
	s_cbranch_execnz .LBB13_17
; %bb.11:                               ;   in Loop: Header=BB13_3 Depth=1
	ds_load_b32 v0, v0
	s_add_i32 s46, s46, 1
	s_waitcnt lgkmcnt(0)
	v_cmp_lt_i32_e32 vcc_lo, s46, v0
	s_cbranch_vccnz .LBB13_3
.LBB13_12:
	s_clause 0x3
	scratch_load_b32 v89, off, s33
	scratch_load_b32 v88, off, s33 offset:4
	scratch_load_b32 v41, off, s33 offset:8
	scratch_load_b32 v40, off, s33 offset:12
	v_readlane_b32 s30, v42, 13
	v_readlane_b32 s31, v42, 14
	;; [unrolled: 1-line block ×16, first 2 shown]
	s_or_saveexec_b32 s1, -1
	scratch_load_b32 v42, off, s33 offset:16 ; 4-byte Folded Reload
	s_mov_b32 exec_lo, s1
	s_addk_i32 s32, 0xffe0
	s_mov_b32 s33, s0
	s_waitcnt vmcnt(0)
	s_setpc_b64 s[30:31]
.LBB13_13:
	s_trap 2
	s_sendmsg_rtn_b32 s0, sendmsg(MSG_RTN_GET_DOORBELL)
	s_mov_b32 ttmp2, m0
	s_waitcnt lgkmcnt(0)
	s_and_b32 s0, s0, 0x3ff
	s_delay_alu instid0(SALU_CYCLE_1) | instskip(NEXT) | instid1(SALU_CYCLE_1)
	s_bitset1_b32 s0, 10
	s_mov_b32 m0, s0
	s_sendmsg sendmsg(MSG_INTERRUPT)
	s_mov_b32 m0, ttmp2
.LBB13_14:                              ; =>This Inner Loop Header: Depth=1
	s_sethalt 5
	s_branch .LBB13_14
.LBB13_15:
	s_trap 2
	s_sendmsg_rtn_b32 s0, sendmsg(MSG_RTN_GET_DOORBELL)
	s_mov_b32 ttmp2, m0
	s_waitcnt lgkmcnt(0)
	s_and_b32 s0, s0, 0x3ff
	s_delay_alu instid0(SALU_CYCLE_1) | instskip(NEXT) | instid1(SALU_CYCLE_1)
	s_bitset1_b32 s0, 10
	s_mov_b32 m0, s0
	s_sendmsg sendmsg(MSG_INTERRUPT)
	s_mov_b32 m0, ttmp2
.LBB13_16:                              ; =>This Inner Loop Header: Depth=1
	s_sethalt 5
	s_branch .LBB13_16
.LBB13_17:
	s_trap 2
	s_sendmsg_rtn_b32 s0, sendmsg(MSG_RTN_GET_DOORBELL)
	s_mov_b32 ttmp2, m0
	s_waitcnt lgkmcnt(0)
	s_and_b32 s0, s0, 0x3ff
	s_delay_alu instid0(SALU_CYCLE_1) | instskip(NEXT) | instid1(SALU_CYCLE_1)
	s_bitset1_b32 s0, 10
	s_mov_b32 m0, s0
	s_sendmsg sendmsg(MSG_INTERRUPT)
	s_mov_b32 m0, ttmp2
.LBB13_18:                              ; =>This Inner Loop Header: Depth=1
	s_sethalt 5
	s_branch .LBB13_18
.LBB13_19:
	s_trap 2
	s_sendmsg_rtn_b32 s0, sendmsg(MSG_RTN_GET_DOORBELL)
	s_mov_b32 ttmp2, m0
	s_waitcnt lgkmcnt(0)
	s_and_b32 s0, s0, 0x3ff
	s_delay_alu instid0(SALU_CYCLE_1) | instskip(NEXT) | instid1(SALU_CYCLE_1)
	s_bitset1_b32 s0, 10
	s_mov_b32 m0, s0
	s_sendmsg sendmsg(MSG_INTERRUPT)
	s_mov_b32 m0, ttmp2
.LBB13_20:                              ; =>This Inner Loop Header: Depth=1
	s_sethalt 5
	s_branch .LBB13_20
.Lfunc_end13:
	.size	_Z46ncclDevFunc_Broadcast_RING_SIMPLE_Sum_i8_0_0_4v, .Lfunc_end13-_Z46ncclDevFunc_Broadcast_RING_SIMPLE_Sum_i8_0_0_4v
                                        ; -- End function
	.section	.AMDGPU.csdata,"",@progbits
; Function info:
; codeLenInByte = 852
; NumSgprs: 49
; NumVgprs: 184
; ScratchSize: 208
; MemoryBound: 0
	.text
	.p2alignl 7, 3214868480
	.fill 96, 4, 3214868480
	.type	__const.__assert_fail.fmt,@object ; @__const.__assert_fail.fmt
	.section	.rodata.str1.16,"aMS",@progbits,1
	.p2align	4, 0x0
__const.__assert_fail.fmt:
	.asciz	"%s:%u: %s: Device-side assertion `%s' failed.\n"
	.size	__const.__assert_fail.fmt, 47

	.type	.str.2,@object                  ; @.str.2
	.section	.rodata.str1.1,"aMS",@progbits,1
.str.2:
	.asciz	"2*(nrecv+nsend) <= nthreads"
	.size	.str.2, 28

	.type	.str.3,@object                  ; @.str.3
.str.3:
	.asciz	"/root/src/amdgpu-assembly/repos/ROCm__rccl/hipify/src/device/prims_simple.h"
	.size	.str.3, 76

	.type	__PRETTY_FUNCTION__._ZN10PrimitivesIa7FuncSumIaE12FanSymmetricILi1EELi0E11ProtoSimpleILi1ELi1ELi0ELi1ELi0ELi0EELi0ELb0ELi0ELi0ELi0EEC2EiiPKiS8_PKvPvmhhhP15ncclDevWorkCollP14ncclDevWorkP2pii,@object ; @__PRETTY_FUNCTION__._ZN10PrimitivesIa7FuncSumIaE12FanSymmetricILi1EELi0E11ProtoSimpleILi1ELi1ELi0ELi1ELi0ELi0EELi0ELb0ELi0ELi0ELi0EEC2EiiPKiS8_PKvPvmhhhP15ncclDevWorkCollP14ncclDevWorkP2pii
__PRETTY_FUNCTION__._ZN10PrimitivesIa7FuncSumIaE12FanSymmetricILi1EELi0E11ProtoSimpleILi1ELi1ELi0ELi1ELi0ELi0EELi0ELb0ELi0ELi0ELi0EEC2EiiPKiS8_PKvPvmhhhP15ncclDevWorkCollP14ncclDevWorkP2pii:
	.asciz	"Primitives<signed char, FuncSum<signed char>, FanSymmetric<1>, 0, ProtoSimple<1, 1, 0, 1>, 0>::Primitives(int, int, const int *, const int *, const void *, void *, uint64_t, uint8_t, uint8_t, uint8_t, struct ncclDevWorkColl *, struct ncclDevWorkP2p *, int, int) [T = signed char, RedOp = FuncSum<signed char>, Fan = FanSymmetric<1>, Direct = 0, Proto = ProtoSimple<1, 1, 0, 1>, P2p = 0, isNetOffload = false, Metadata = 0, Pipeline = 0, useAcc = 0]"
	.size	__PRETTY_FUNCTION__._ZN10PrimitivesIa7FuncSumIaE12FanSymmetricILi1EELi0E11ProtoSimpleILi1ELi1ELi0ELi1ELi0ELi0EELi0ELb0ELi0ELi0ELi0EEC2EiiPKiS8_PKvPvmhhhP15ncclDevWorkCollP14ncclDevWorkP2pii, 449

	.type	__PRETTY_FUNCTION__._ZN10PrimitivesIa7FuncSumIaE12FanSymmetricILi1EELi0E11ProtoSimpleILi1ELi1ELi0ELi2ELi0ELi0EELi0ELb0ELi0ELi0ELi0EEC2EiiPKiS8_PKvPvmhhhP15ncclDevWorkCollP14ncclDevWorkP2pii,@object ; @__PRETTY_FUNCTION__._ZN10PrimitivesIa7FuncSumIaE12FanSymmetricILi1EELi0E11ProtoSimpleILi1ELi1ELi0ELi2ELi0ELi0EELi0ELb0ELi0ELi0ELi0EEC2EiiPKiS8_PKvPvmhhhP15ncclDevWorkCollP14ncclDevWorkP2pii
__PRETTY_FUNCTION__._ZN10PrimitivesIa7FuncSumIaE12FanSymmetricILi1EELi0E11ProtoSimpleILi1ELi1ELi0ELi2ELi0ELi0EELi0ELb0ELi0ELi0ELi0EEC2EiiPKiS8_PKvPvmhhhP15ncclDevWorkCollP14ncclDevWorkP2pii:
	.asciz	"Primitives<signed char, FuncSum<signed char>, FanSymmetric<1>, 0, ProtoSimple<1, 1, 0, 2>, 0>::Primitives(int, int, const int *, const int *, const void *, void *, uint64_t, uint8_t, uint8_t, uint8_t, struct ncclDevWorkColl *, struct ncclDevWorkP2p *, int, int) [T = signed char, RedOp = FuncSum<signed char>, Fan = FanSymmetric<1>, Direct = 0, Proto = ProtoSimple<1, 1, 0, 2>, P2p = 0, isNetOffload = false, Metadata = 0, Pipeline = 0, useAcc = 0]"
	.size	__PRETTY_FUNCTION__._ZN10PrimitivesIa7FuncSumIaE12FanSymmetricILi1EELi0E11ProtoSimpleILi1ELi1ELi0ELi2ELi0ELi0EELi0ELb0ELi0ELi0ELi0EEC2EiiPKiS8_PKvPvmhhhP15ncclDevWorkCollP14ncclDevWorkP2pii, 449

	.type	__PRETTY_FUNCTION__._ZN10PrimitivesIa7FuncSumIaE12FanSymmetricILi1EELi0E11ProtoSimpleILi1ELi1ELi0ELi4ELi0ELi0EELi0ELb0ELi0ELi0ELi0EEC2EiiPKiS8_PKvPvmhhhP15ncclDevWorkCollP14ncclDevWorkP2pii,@object ; @__PRETTY_FUNCTION__._ZN10PrimitivesIa7FuncSumIaE12FanSymmetricILi1EELi0E11ProtoSimpleILi1ELi1ELi0ELi4ELi0ELi0EELi0ELb0ELi0ELi0ELi0EEC2EiiPKiS8_PKvPvmhhhP15ncclDevWorkCollP14ncclDevWorkP2pii
__PRETTY_FUNCTION__._ZN10PrimitivesIa7FuncSumIaE12FanSymmetricILi1EELi0E11ProtoSimpleILi1ELi1ELi0ELi4ELi0ELi0EELi0ELb0ELi0ELi0ELi0EEC2EiiPKiS8_PKvPvmhhhP15ncclDevWorkCollP14ncclDevWorkP2pii:
	.asciz	"Primitives<signed char, FuncSum<signed char>, FanSymmetric<1>, 0, ProtoSimple<1, 1, 0, 4>, 0>::Primitives(int, int, const int *, const int *, const void *, void *, uint64_t, uint8_t, uint8_t, uint8_t, struct ncclDevWorkColl *, struct ncclDevWorkP2p *, int, int) [T = signed char, RedOp = FuncSum<signed char>, Fan = FanSymmetric<1>, Direct = 0, Proto = ProtoSimple<1, 1, 0, 4>, P2p = 0, isNetOffload = false, Metadata = 0, Pipeline = 0, useAcc = 0]"
	.size	__PRETTY_FUNCTION__._ZN10PrimitivesIa7FuncSumIaE12FanSymmetricILi1EELi0E11ProtoSimpleILi1ELi1ELi0ELi4ELi0ELi0EELi0ELb0ELi0ELi0ELi0EEC2EiiPKiS8_PKvPvmhhhP15ncclDevWorkCollP14ncclDevWorkP2pii, 449

	.type	__hip_cuid_86edcb5f85ec258f,@object ; @__hip_cuid_86edcb5f85ec258f
	.section	.bss,"aw",@nobits
	.globl	__hip_cuid_86edcb5f85ec258f
__hip_cuid_86edcb5f85ec258f:
	.byte	0                               ; 0x0
	.size	__hip_cuid_86edcb5f85ec258f, 1

	.ident	"AMD clang version 19.0.0git (https://github.com/RadeonOpenCompute/llvm-project roc-6.4.0 25133 c7fe45cf4b819c5991fe208aaa96edf142730f1d)"
	.section	".note.GNU-stack","",@progbits
	.addrsig
	.addrsig_sym _Z42ncclDevFunc_Broadcast_RING_LL_Sum_i8_0_0_1v
	.addrsig_sym _Z46ncclDevFunc_Broadcast_RING_SIMPLE_Sum_i8_0_0_1v
	.addrsig_sym _Z42ncclDevFunc_Broadcast_RING_LL_Sum_i8_0_0_2v
	.addrsig_sym _Z46ncclDevFunc_Broadcast_RING_SIMPLE_Sum_i8_0_0_2v
	.addrsig_sym _Z42ncclDevFunc_Broadcast_RING_LL_Sum_i8_0_0_4v
	.addrsig_sym _Z46ncclDevFunc_Broadcast_RING_SIMPLE_Sum_i8_0_0_4v
	.addrsig_sym ncclShmem
	.addrsig_sym __hip_cuid_86edcb5f85ec258f
	.amdgpu_metadata
---
amdhsa.kernels:  []
amdhsa.target:   amdgcn-amd-amdhsa--gfx1100
amdhsa.version:
  - 1
  - 2
...

	.end_amdgpu_metadata
